;; amdgpu-corpus repo=ROCm/rocThrust kind=compiled arch=gfx906 opt=O3
	.amdgcn_target "amdgcn-amd-amdhsa--gfx906"
	.amdhsa_code_object_version 6
	.section	.text._ZN7rocprim17ROCPRIM_400000_NS6detail17trampoline_kernelINS0_14default_configENS1_22reduce_config_selectorI18summary_stats_dataIfEEEZNS1_11reduce_implILb1ES3_PS6_S9_S6_23summary_stats_binary_opIfEEE10hipError_tPvRmT1_T2_T3_mT4_P12ihipStream_tbEUlT_E0_NS1_11comp_targetILNS1_3genE0ELNS1_11target_archE4294967295ELNS1_3gpuE0ELNS1_3repE0EEENS1_30default_config_static_selectorELNS0_4arch9wavefront6targetE1EEEvSF_,"axG",@progbits,_ZN7rocprim17ROCPRIM_400000_NS6detail17trampoline_kernelINS0_14default_configENS1_22reduce_config_selectorI18summary_stats_dataIfEEEZNS1_11reduce_implILb1ES3_PS6_S9_S6_23summary_stats_binary_opIfEEE10hipError_tPvRmT1_T2_T3_mT4_P12ihipStream_tbEUlT_E0_NS1_11comp_targetILNS1_3genE0ELNS1_11target_archE4294967295ELNS1_3gpuE0ELNS1_3repE0EEENS1_30default_config_static_selectorELNS0_4arch9wavefront6targetE1EEEvSF_,comdat
	.protected	_ZN7rocprim17ROCPRIM_400000_NS6detail17trampoline_kernelINS0_14default_configENS1_22reduce_config_selectorI18summary_stats_dataIfEEEZNS1_11reduce_implILb1ES3_PS6_S9_S6_23summary_stats_binary_opIfEEE10hipError_tPvRmT1_T2_T3_mT4_P12ihipStream_tbEUlT_E0_NS1_11comp_targetILNS1_3genE0ELNS1_11target_archE4294967295ELNS1_3gpuE0ELNS1_3repE0EEENS1_30default_config_static_selectorELNS0_4arch9wavefront6targetE1EEEvSF_ ; -- Begin function _ZN7rocprim17ROCPRIM_400000_NS6detail17trampoline_kernelINS0_14default_configENS1_22reduce_config_selectorI18summary_stats_dataIfEEEZNS1_11reduce_implILb1ES3_PS6_S9_S6_23summary_stats_binary_opIfEEE10hipError_tPvRmT1_T2_T3_mT4_P12ihipStream_tbEUlT_E0_NS1_11comp_targetILNS1_3genE0ELNS1_11target_archE4294967295ELNS1_3gpuE0ELNS1_3repE0EEENS1_30default_config_static_selectorELNS0_4arch9wavefront6targetE1EEEvSF_
	.globl	_ZN7rocprim17ROCPRIM_400000_NS6detail17trampoline_kernelINS0_14default_configENS1_22reduce_config_selectorI18summary_stats_dataIfEEEZNS1_11reduce_implILb1ES3_PS6_S9_S6_23summary_stats_binary_opIfEEE10hipError_tPvRmT1_T2_T3_mT4_P12ihipStream_tbEUlT_E0_NS1_11comp_targetILNS1_3genE0ELNS1_11target_archE4294967295ELNS1_3gpuE0ELNS1_3repE0EEENS1_30default_config_static_selectorELNS0_4arch9wavefront6targetE1EEEvSF_
	.p2align	8
	.type	_ZN7rocprim17ROCPRIM_400000_NS6detail17trampoline_kernelINS0_14default_configENS1_22reduce_config_selectorI18summary_stats_dataIfEEEZNS1_11reduce_implILb1ES3_PS6_S9_S6_23summary_stats_binary_opIfEEE10hipError_tPvRmT1_T2_T3_mT4_P12ihipStream_tbEUlT_E0_NS1_11comp_targetILNS1_3genE0ELNS1_11target_archE4294967295ELNS1_3gpuE0ELNS1_3repE0EEENS1_30default_config_static_selectorELNS0_4arch9wavefront6targetE1EEEvSF_,@function
_ZN7rocprim17ROCPRIM_400000_NS6detail17trampoline_kernelINS0_14default_configENS1_22reduce_config_selectorI18summary_stats_dataIfEEEZNS1_11reduce_implILb1ES3_PS6_S9_S6_23summary_stats_binary_opIfEEE10hipError_tPvRmT1_T2_T3_mT4_P12ihipStream_tbEUlT_E0_NS1_11comp_targetILNS1_3genE0ELNS1_11target_archE4294967295ELNS1_3gpuE0ELNS1_3repE0EEENS1_30default_config_static_selectorELNS0_4arch9wavefront6targetE1EEEvSF_: ; @_ZN7rocprim17ROCPRIM_400000_NS6detail17trampoline_kernelINS0_14default_configENS1_22reduce_config_selectorI18summary_stats_dataIfEEEZNS1_11reduce_implILb1ES3_PS6_S9_S6_23summary_stats_binary_opIfEEE10hipError_tPvRmT1_T2_T3_mT4_P12ihipStream_tbEUlT_E0_NS1_11comp_targetILNS1_3genE0ELNS1_11target_archE4294967295ELNS1_3gpuE0ELNS1_3repE0EEENS1_30default_config_static_selectorELNS0_4arch9wavefront6targetE1EEEvSF_
; %bb.0:
	.section	.rodata,"a",@progbits
	.p2align	6, 0x0
	.amdhsa_kernel _ZN7rocprim17ROCPRIM_400000_NS6detail17trampoline_kernelINS0_14default_configENS1_22reduce_config_selectorI18summary_stats_dataIfEEEZNS1_11reduce_implILb1ES3_PS6_S9_S6_23summary_stats_binary_opIfEEE10hipError_tPvRmT1_T2_T3_mT4_P12ihipStream_tbEUlT_E0_NS1_11comp_targetILNS1_3genE0ELNS1_11target_archE4294967295ELNS1_3gpuE0ELNS1_3repE0EEENS1_30default_config_static_selectorELNS0_4arch9wavefront6targetE1EEEvSF_
		.amdhsa_group_segment_fixed_size 0
		.amdhsa_private_segment_fixed_size 0
		.amdhsa_kernarg_size 80
		.amdhsa_user_sgpr_count 6
		.amdhsa_user_sgpr_private_segment_buffer 1
		.amdhsa_user_sgpr_dispatch_ptr 0
		.amdhsa_user_sgpr_queue_ptr 0
		.amdhsa_user_sgpr_kernarg_segment_ptr 1
		.amdhsa_user_sgpr_dispatch_id 0
		.amdhsa_user_sgpr_flat_scratch_init 0
		.amdhsa_user_sgpr_private_segment_size 0
		.amdhsa_uses_dynamic_stack 0
		.amdhsa_system_sgpr_private_segment_wavefront_offset 0
		.amdhsa_system_sgpr_workgroup_id_x 1
		.amdhsa_system_sgpr_workgroup_id_y 0
		.amdhsa_system_sgpr_workgroup_id_z 0
		.amdhsa_system_sgpr_workgroup_info 0
		.amdhsa_system_vgpr_workitem_id 0
		.amdhsa_next_free_vgpr 1
		.amdhsa_next_free_sgpr 0
		.amdhsa_reserve_vcc 0
		.amdhsa_reserve_flat_scratch 0
		.amdhsa_float_round_mode_32 0
		.amdhsa_float_round_mode_16_64 0
		.amdhsa_float_denorm_mode_32 3
		.amdhsa_float_denorm_mode_16_64 3
		.amdhsa_dx10_clamp 1
		.amdhsa_ieee_mode 1
		.amdhsa_fp16_overflow 0
		.amdhsa_exception_fp_ieee_invalid_op 0
		.amdhsa_exception_fp_denorm_src 0
		.amdhsa_exception_fp_ieee_div_zero 0
		.amdhsa_exception_fp_ieee_overflow 0
		.amdhsa_exception_fp_ieee_underflow 0
		.amdhsa_exception_fp_ieee_inexact 0
		.amdhsa_exception_int_div_zero 0
	.end_amdhsa_kernel
	.section	.text._ZN7rocprim17ROCPRIM_400000_NS6detail17trampoline_kernelINS0_14default_configENS1_22reduce_config_selectorI18summary_stats_dataIfEEEZNS1_11reduce_implILb1ES3_PS6_S9_S6_23summary_stats_binary_opIfEEE10hipError_tPvRmT1_T2_T3_mT4_P12ihipStream_tbEUlT_E0_NS1_11comp_targetILNS1_3genE0ELNS1_11target_archE4294967295ELNS1_3gpuE0ELNS1_3repE0EEENS1_30default_config_static_selectorELNS0_4arch9wavefront6targetE1EEEvSF_,"axG",@progbits,_ZN7rocprim17ROCPRIM_400000_NS6detail17trampoline_kernelINS0_14default_configENS1_22reduce_config_selectorI18summary_stats_dataIfEEEZNS1_11reduce_implILb1ES3_PS6_S9_S6_23summary_stats_binary_opIfEEE10hipError_tPvRmT1_T2_T3_mT4_P12ihipStream_tbEUlT_E0_NS1_11comp_targetILNS1_3genE0ELNS1_11target_archE4294967295ELNS1_3gpuE0ELNS1_3repE0EEENS1_30default_config_static_selectorELNS0_4arch9wavefront6targetE1EEEvSF_,comdat
.Lfunc_end0:
	.size	_ZN7rocprim17ROCPRIM_400000_NS6detail17trampoline_kernelINS0_14default_configENS1_22reduce_config_selectorI18summary_stats_dataIfEEEZNS1_11reduce_implILb1ES3_PS6_S9_S6_23summary_stats_binary_opIfEEE10hipError_tPvRmT1_T2_T3_mT4_P12ihipStream_tbEUlT_E0_NS1_11comp_targetILNS1_3genE0ELNS1_11target_archE4294967295ELNS1_3gpuE0ELNS1_3repE0EEENS1_30default_config_static_selectorELNS0_4arch9wavefront6targetE1EEEvSF_, .Lfunc_end0-_ZN7rocprim17ROCPRIM_400000_NS6detail17trampoline_kernelINS0_14default_configENS1_22reduce_config_selectorI18summary_stats_dataIfEEEZNS1_11reduce_implILb1ES3_PS6_S9_S6_23summary_stats_binary_opIfEEE10hipError_tPvRmT1_T2_T3_mT4_P12ihipStream_tbEUlT_E0_NS1_11comp_targetILNS1_3genE0ELNS1_11target_archE4294967295ELNS1_3gpuE0ELNS1_3repE0EEENS1_30default_config_static_selectorELNS0_4arch9wavefront6targetE1EEEvSF_
                                        ; -- End function
	.set _ZN7rocprim17ROCPRIM_400000_NS6detail17trampoline_kernelINS0_14default_configENS1_22reduce_config_selectorI18summary_stats_dataIfEEEZNS1_11reduce_implILb1ES3_PS6_S9_S6_23summary_stats_binary_opIfEEE10hipError_tPvRmT1_T2_T3_mT4_P12ihipStream_tbEUlT_E0_NS1_11comp_targetILNS1_3genE0ELNS1_11target_archE4294967295ELNS1_3gpuE0ELNS1_3repE0EEENS1_30default_config_static_selectorELNS0_4arch9wavefront6targetE1EEEvSF_.num_vgpr, 0
	.set _ZN7rocprim17ROCPRIM_400000_NS6detail17trampoline_kernelINS0_14default_configENS1_22reduce_config_selectorI18summary_stats_dataIfEEEZNS1_11reduce_implILb1ES3_PS6_S9_S6_23summary_stats_binary_opIfEEE10hipError_tPvRmT1_T2_T3_mT4_P12ihipStream_tbEUlT_E0_NS1_11comp_targetILNS1_3genE0ELNS1_11target_archE4294967295ELNS1_3gpuE0ELNS1_3repE0EEENS1_30default_config_static_selectorELNS0_4arch9wavefront6targetE1EEEvSF_.num_agpr, 0
	.set _ZN7rocprim17ROCPRIM_400000_NS6detail17trampoline_kernelINS0_14default_configENS1_22reduce_config_selectorI18summary_stats_dataIfEEEZNS1_11reduce_implILb1ES3_PS6_S9_S6_23summary_stats_binary_opIfEEE10hipError_tPvRmT1_T2_T3_mT4_P12ihipStream_tbEUlT_E0_NS1_11comp_targetILNS1_3genE0ELNS1_11target_archE4294967295ELNS1_3gpuE0ELNS1_3repE0EEENS1_30default_config_static_selectorELNS0_4arch9wavefront6targetE1EEEvSF_.numbered_sgpr, 0
	.set _ZN7rocprim17ROCPRIM_400000_NS6detail17trampoline_kernelINS0_14default_configENS1_22reduce_config_selectorI18summary_stats_dataIfEEEZNS1_11reduce_implILb1ES3_PS6_S9_S6_23summary_stats_binary_opIfEEE10hipError_tPvRmT1_T2_T3_mT4_P12ihipStream_tbEUlT_E0_NS1_11comp_targetILNS1_3genE0ELNS1_11target_archE4294967295ELNS1_3gpuE0ELNS1_3repE0EEENS1_30default_config_static_selectorELNS0_4arch9wavefront6targetE1EEEvSF_.num_named_barrier, 0
	.set _ZN7rocprim17ROCPRIM_400000_NS6detail17trampoline_kernelINS0_14default_configENS1_22reduce_config_selectorI18summary_stats_dataIfEEEZNS1_11reduce_implILb1ES3_PS6_S9_S6_23summary_stats_binary_opIfEEE10hipError_tPvRmT1_T2_T3_mT4_P12ihipStream_tbEUlT_E0_NS1_11comp_targetILNS1_3genE0ELNS1_11target_archE4294967295ELNS1_3gpuE0ELNS1_3repE0EEENS1_30default_config_static_selectorELNS0_4arch9wavefront6targetE1EEEvSF_.private_seg_size, 0
	.set _ZN7rocprim17ROCPRIM_400000_NS6detail17trampoline_kernelINS0_14default_configENS1_22reduce_config_selectorI18summary_stats_dataIfEEEZNS1_11reduce_implILb1ES3_PS6_S9_S6_23summary_stats_binary_opIfEEE10hipError_tPvRmT1_T2_T3_mT4_P12ihipStream_tbEUlT_E0_NS1_11comp_targetILNS1_3genE0ELNS1_11target_archE4294967295ELNS1_3gpuE0ELNS1_3repE0EEENS1_30default_config_static_selectorELNS0_4arch9wavefront6targetE1EEEvSF_.uses_vcc, 0
	.set _ZN7rocprim17ROCPRIM_400000_NS6detail17trampoline_kernelINS0_14default_configENS1_22reduce_config_selectorI18summary_stats_dataIfEEEZNS1_11reduce_implILb1ES3_PS6_S9_S6_23summary_stats_binary_opIfEEE10hipError_tPvRmT1_T2_T3_mT4_P12ihipStream_tbEUlT_E0_NS1_11comp_targetILNS1_3genE0ELNS1_11target_archE4294967295ELNS1_3gpuE0ELNS1_3repE0EEENS1_30default_config_static_selectorELNS0_4arch9wavefront6targetE1EEEvSF_.uses_flat_scratch, 0
	.set _ZN7rocprim17ROCPRIM_400000_NS6detail17trampoline_kernelINS0_14default_configENS1_22reduce_config_selectorI18summary_stats_dataIfEEEZNS1_11reduce_implILb1ES3_PS6_S9_S6_23summary_stats_binary_opIfEEE10hipError_tPvRmT1_T2_T3_mT4_P12ihipStream_tbEUlT_E0_NS1_11comp_targetILNS1_3genE0ELNS1_11target_archE4294967295ELNS1_3gpuE0ELNS1_3repE0EEENS1_30default_config_static_selectorELNS0_4arch9wavefront6targetE1EEEvSF_.has_dyn_sized_stack, 0
	.set _ZN7rocprim17ROCPRIM_400000_NS6detail17trampoline_kernelINS0_14default_configENS1_22reduce_config_selectorI18summary_stats_dataIfEEEZNS1_11reduce_implILb1ES3_PS6_S9_S6_23summary_stats_binary_opIfEEE10hipError_tPvRmT1_T2_T3_mT4_P12ihipStream_tbEUlT_E0_NS1_11comp_targetILNS1_3genE0ELNS1_11target_archE4294967295ELNS1_3gpuE0ELNS1_3repE0EEENS1_30default_config_static_selectorELNS0_4arch9wavefront6targetE1EEEvSF_.has_recursion, 0
	.set _ZN7rocprim17ROCPRIM_400000_NS6detail17trampoline_kernelINS0_14default_configENS1_22reduce_config_selectorI18summary_stats_dataIfEEEZNS1_11reduce_implILb1ES3_PS6_S9_S6_23summary_stats_binary_opIfEEE10hipError_tPvRmT1_T2_T3_mT4_P12ihipStream_tbEUlT_E0_NS1_11comp_targetILNS1_3genE0ELNS1_11target_archE4294967295ELNS1_3gpuE0ELNS1_3repE0EEENS1_30default_config_static_selectorELNS0_4arch9wavefront6targetE1EEEvSF_.has_indirect_call, 0
	.section	.AMDGPU.csdata,"",@progbits
; Kernel info:
; codeLenInByte = 0
; TotalNumSgprs: 4
; NumVgprs: 0
; ScratchSize: 0
; MemoryBound: 0
; FloatMode: 240
; IeeeMode: 1
; LDSByteSize: 0 bytes/workgroup (compile time only)
; SGPRBlocks: 0
; VGPRBlocks: 0
; NumSGPRsForWavesPerEU: 4
; NumVGPRsForWavesPerEU: 1
; Occupancy: 10
; WaveLimiterHint : 0
; COMPUTE_PGM_RSRC2:SCRATCH_EN: 0
; COMPUTE_PGM_RSRC2:USER_SGPR: 6
; COMPUTE_PGM_RSRC2:TRAP_HANDLER: 0
; COMPUTE_PGM_RSRC2:TGID_X_EN: 1
; COMPUTE_PGM_RSRC2:TGID_Y_EN: 0
; COMPUTE_PGM_RSRC2:TGID_Z_EN: 0
; COMPUTE_PGM_RSRC2:TIDIG_COMP_CNT: 0
	.section	.text._ZN7rocprim17ROCPRIM_400000_NS6detail17trampoline_kernelINS0_14default_configENS1_22reduce_config_selectorI18summary_stats_dataIfEEEZNS1_11reduce_implILb1ES3_PS6_S9_S6_23summary_stats_binary_opIfEEE10hipError_tPvRmT1_T2_T3_mT4_P12ihipStream_tbEUlT_E0_NS1_11comp_targetILNS1_3genE5ELNS1_11target_archE942ELNS1_3gpuE9ELNS1_3repE0EEENS1_30default_config_static_selectorELNS0_4arch9wavefront6targetE1EEEvSF_,"axG",@progbits,_ZN7rocprim17ROCPRIM_400000_NS6detail17trampoline_kernelINS0_14default_configENS1_22reduce_config_selectorI18summary_stats_dataIfEEEZNS1_11reduce_implILb1ES3_PS6_S9_S6_23summary_stats_binary_opIfEEE10hipError_tPvRmT1_T2_T3_mT4_P12ihipStream_tbEUlT_E0_NS1_11comp_targetILNS1_3genE5ELNS1_11target_archE942ELNS1_3gpuE9ELNS1_3repE0EEENS1_30default_config_static_selectorELNS0_4arch9wavefront6targetE1EEEvSF_,comdat
	.protected	_ZN7rocprim17ROCPRIM_400000_NS6detail17trampoline_kernelINS0_14default_configENS1_22reduce_config_selectorI18summary_stats_dataIfEEEZNS1_11reduce_implILb1ES3_PS6_S9_S6_23summary_stats_binary_opIfEEE10hipError_tPvRmT1_T2_T3_mT4_P12ihipStream_tbEUlT_E0_NS1_11comp_targetILNS1_3genE5ELNS1_11target_archE942ELNS1_3gpuE9ELNS1_3repE0EEENS1_30default_config_static_selectorELNS0_4arch9wavefront6targetE1EEEvSF_ ; -- Begin function _ZN7rocprim17ROCPRIM_400000_NS6detail17trampoline_kernelINS0_14default_configENS1_22reduce_config_selectorI18summary_stats_dataIfEEEZNS1_11reduce_implILb1ES3_PS6_S9_S6_23summary_stats_binary_opIfEEE10hipError_tPvRmT1_T2_T3_mT4_P12ihipStream_tbEUlT_E0_NS1_11comp_targetILNS1_3genE5ELNS1_11target_archE942ELNS1_3gpuE9ELNS1_3repE0EEENS1_30default_config_static_selectorELNS0_4arch9wavefront6targetE1EEEvSF_
	.globl	_ZN7rocprim17ROCPRIM_400000_NS6detail17trampoline_kernelINS0_14default_configENS1_22reduce_config_selectorI18summary_stats_dataIfEEEZNS1_11reduce_implILb1ES3_PS6_S9_S6_23summary_stats_binary_opIfEEE10hipError_tPvRmT1_T2_T3_mT4_P12ihipStream_tbEUlT_E0_NS1_11comp_targetILNS1_3genE5ELNS1_11target_archE942ELNS1_3gpuE9ELNS1_3repE0EEENS1_30default_config_static_selectorELNS0_4arch9wavefront6targetE1EEEvSF_
	.p2align	8
	.type	_ZN7rocprim17ROCPRIM_400000_NS6detail17trampoline_kernelINS0_14default_configENS1_22reduce_config_selectorI18summary_stats_dataIfEEEZNS1_11reduce_implILb1ES3_PS6_S9_S6_23summary_stats_binary_opIfEEE10hipError_tPvRmT1_T2_T3_mT4_P12ihipStream_tbEUlT_E0_NS1_11comp_targetILNS1_3genE5ELNS1_11target_archE942ELNS1_3gpuE9ELNS1_3repE0EEENS1_30default_config_static_selectorELNS0_4arch9wavefront6targetE1EEEvSF_,@function
_ZN7rocprim17ROCPRIM_400000_NS6detail17trampoline_kernelINS0_14default_configENS1_22reduce_config_selectorI18summary_stats_dataIfEEEZNS1_11reduce_implILb1ES3_PS6_S9_S6_23summary_stats_binary_opIfEEE10hipError_tPvRmT1_T2_T3_mT4_P12ihipStream_tbEUlT_E0_NS1_11comp_targetILNS1_3genE5ELNS1_11target_archE942ELNS1_3gpuE9ELNS1_3repE0EEENS1_30default_config_static_selectorELNS0_4arch9wavefront6targetE1EEEvSF_: ; @_ZN7rocprim17ROCPRIM_400000_NS6detail17trampoline_kernelINS0_14default_configENS1_22reduce_config_selectorI18summary_stats_dataIfEEEZNS1_11reduce_implILb1ES3_PS6_S9_S6_23summary_stats_binary_opIfEEE10hipError_tPvRmT1_T2_T3_mT4_P12ihipStream_tbEUlT_E0_NS1_11comp_targetILNS1_3genE5ELNS1_11target_archE942ELNS1_3gpuE9ELNS1_3repE0EEENS1_30default_config_static_selectorELNS0_4arch9wavefront6targetE1EEEvSF_
; %bb.0:
	.section	.rodata,"a",@progbits
	.p2align	6, 0x0
	.amdhsa_kernel _ZN7rocprim17ROCPRIM_400000_NS6detail17trampoline_kernelINS0_14default_configENS1_22reduce_config_selectorI18summary_stats_dataIfEEEZNS1_11reduce_implILb1ES3_PS6_S9_S6_23summary_stats_binary_opIfEEE10hipError_tPvRmT1_T2_T3_mT4_P12ihipStream_tbEUlT_E0_NS1_11comp_targetILNS1_3genE5ELNS1_11target_archE942ELNS1_3gpuE9ELNS1_3repE0EEENS1_30default_config_static_selectorELNS0_4arch9wavefront6targetE1EEEvSF_
		.amdhsa_group_segment_fixed_size 0
		.amdhsa_private_segment_fixed_size 0
		.amdhsa_kernarg_size 80
		.amdhsa_user_sgpr_count 6
		.amdhsa_user_sgpr_private_segment_buffer 1
		.amdhsa_user_sgpr_dispatch_ptr 0
		.amdhsa_user_sgpr_queue_ptr 0
		.amdhsa_user_sgpr_kernarg_segment_ptr 1
		.amdhsa_user_sgpr_dispatch_id 0
		.amdhsa_user_sgpr_flat_scratch_init 0
		.amdhsa_user_sgpr_private_segment_size 0
		.amdhsa_uses_dynamic_stack 0
		.amdhsa_system_sgpr_private_segment_wavefront_offset 0
		.amdhsa_system_sgpr_workgroup_id_x 1
		.amdhsa_system_sgpr_workgroup_id_y 0
		.amdhsa_system_sgpr_workgroup_id_z 0
		.amdhsa_system_sgpr_workgroup_info 0
		.amdhsa_system_vgpr_workitem_id 0
		.amdhsa_next_free_vgpr 1
		.amdhsa_next_free_sgpr 0
		.amdhsa_reserve_vcc 0
		.amdhsa_reserve_flat_scratch 0
		.amdhsa_float_round_mode_32 0
		.amdhsa_float_round_mode_16_64 0
		.amdhsa_float_denorm_mode_32 3
		.amdhsa_float_denorm_mode_16_64 3
		.amdhsa_dx10_clamp 1
		.amdhsa_ieee_mode 1
		.amdhsa_fp16_overflow 0
		.amdhsa_exception_fp_ieee_invalid_op 0
		.amdhsa_exception_fp_denorm_src 0
		.amdhsa_exception_fp_ieee_div_zero 0
		.amdhsa_exception_fp_ieee_overflow 0
		.amdhsa_exception_fp_ieee_underflow 0
		.amdhsa_exception_fp_ieee_inexact 0
		.amdhsa_exception_int_div_zero 0
	.end_amdhsa_kernel
	.section	.text._ZN7rocprim17ROCPRIM_400000_NS6detail17trampoline_kernelINS0_14default_configENS1_22reduce_config_selectorI18summary_stats_dataIfEEEZNS1_11reduce_implILb1ES3_PS6_S9_S6_23summary_stats_binary_opIfEEE10hipError_tPvRmT1_T2_T3_mT4_P12ihipStream_tbEUlT_E0_NS1_11comp_targetILNS1_3genE5ELNS1_11target_archE942ELNS1_3gpuE9ELNS1_3repE0EEENS1_30default_config_static_selectorELNS0_4arch9wavefront6targetE1EEEvSF_,"axG",@progbits,_ZN7rocprim17ROCPRIM_400000_NS6detail17trampoline_kernelINS0_14default_configENS1_22reduce_config_selectorI18summary_stats_dataIfEEEZNS1_11reduce_implILb1ES3_PS6_S9_S6_23summary_stats_binary_opIfEEE10hipError_tPvRmT1_T2_T3_mT4_P12ihipStream_tbEUlT_E0_NS1_11comp_targetILNS1_3genE5ELNS1_11target_archE942ELNS1_3gpuE9ELNS1_3repE0EEENS1_30default_config_static_selectorELNS0_4arch9wavefront6targetE1EEEvSF_,comdat
.Lfunc_end1:
	.size	_ZN7rocprim17ROCPRIM_400000_NS6detail17trampoline_kernelINS0_14default_configENS1_22reduce_config_selectorI18summary_stats_dataIfEEEZNS1_11reduce_implILb1ES3_PS6_S9_S6_23summary_stats_binary_opIfEEE10hipError_tPvRmT1_T2_T3_mT4_P12ihipStream_tbEUlT_E0_NS1_11comp_targetILNS1_3genE5ELNS1_11target_archE942ELNS1_3gpuE9ELNS1_3repE0EEENS1_30default_config_static_selectorELNS0_4arch9wavefront6targetE1EEEvSF_, .Lfunc_end1-_ZN7rocprim17ROCPRIM_400000_NS6detail17trampoline_kernelINS0_14default_configENS1_22reduce_config_selectorI18summary_stats_dataIfEEEZNS1_11reduce_implILb1ES3_PS6_S9_S6_23summary_stats_binary_opIfEEE10hipError_tPvRmT1_T2_T3_mT4_P12ihipStream_tbEUlT_E0_NS1_11comp_targetILNS1_3genE5ELNS1_11target_archE942ELNS1_3gpuE9ELNS1_3repE0EEENS1_30default_config_static_selectorELNS0_4arch9wavefront6targetE1EEEvSF_
                                        ; -- End function
	.set _ZN7rocprim17ROCPRIM_400000_NS6detail17trampoline_kernelINS0_14default_configENS1_22reduce_config_selectorI18summary_stats_dataIfEEEZNS1_11reduce_implILb1ES3_PS6_S9_S6_23summary_stats_binary_opIfEEE10hipError_tPvRmT1_T2_T3_mT4_P12ihipStream_tbEUlT_E0_NS1_11comp_targetILNS1_3genE5ELNS1_11target_archE942ELNS1_3gpuE9ELNS1_3repE0EEENS1_30default_config_static_selectorELNS0_4arch9wavefront6targetE1EEEvSF_.num_vgpr, 0
	.set _ZN7rocprim17ROCPRIM_400000_NS6detail17trampoline_kernelINS0_14default_configENS1_22reduce_config_selectorI18summary_stats_dataIfEEEZNS1_11reduce_implILb1ES3_PS6_S9_S6_23summary_stats_binary_opIfEEE10hipError_tPvRmT1_T2_T3_mT4_P12ihipStream_tbEUlT_E0_NS1_11comp_targetILNS1_3genE5ELNS1_11target_archE942ELNS1_3gpuE9ELNS1_3repE0EEENS1_30default_config_static_selectorELNS0_4arch9wavefront6targetE1EEEvSF_.num_agpr, 0
	.set _ZN7rocprim17ROCPRIM_400000_NS6detail17trampoline_kernelINS0_14default_configENS1_22reduce_config_selectorI18summary_stats_dataIfEEEZNS1_11reduce_implILb1ES3_PS6_S9_S6_23summary_stats_binary_opIfEEE10hipError_tPvRmT1_T2_T3_mT4_P12ihipStream_tbEUlT_E0_NS1_11comp_targetILNS1_3genE5ELNS1_11target_archE942ELNS1_3gpuE9ELNS1_3repE0EEENS1_30default_config_static_selectorELNS0_4arch9wavefront6targetE1EEEvSF_.numbered_sgpr, 0
	.set _ZN7rocprim17ROCPRIM_400000_NS6detail17trampoline_kernelINS0_14default_configENS1_22reduce_config_selectorI18summary_stats_dataIfEEEZNS1_11reduce_implILb1ES3_PS6_S9_S6_23summary_stats_binary_opIfEEE10hipError_tPvRmT1_T2_T3_mT4_P12ihipStream_tbEUlT_E0_NS1_11comp_targetILNS1_3genE5ELNS1_11target_archE942ELNS1_3gpuE9ELNS1_3repE0EEENS1_30default_config_static_selectorELNS0_4arch9wavefront6targetE1EEEvSF_.num_named_barrier, 0
	.set _ZN7rocprim17ROCPRIM_400000_NS6detail17trampoline_kernelINS0_14default_configENS1_22reduce_config_selectorI18summary_stats_dataIfEEEZNS1_11reduce_implILb1ES3_PS6_S9_S6_23summary_stats_binary_opIfEEE10hipError_tPvRmT1_T2_T3_mT4_P12ihipStream_tbEUlT_E0_NS1_11comp_targetILNS1_3genE5ELNS1_11target_archE942ELNS1_3gpuE9ELNS1_3repE0EEENS1_30default_config_static_selectorELNS0_4arch9wavefront6targetE1EEEvSF_.private_seg_size, 0
	.set _ZN7rocprim17ROCPRIM_400000_NS6detail17trampoline_kernelINS0_14default_configENS1_22reduce_config_selectorI18summary_stats_dataIfEEEZNS1_11reduce_implILb1ES3_PS6_S9_S6_23summary_stats_binary_opIfEEE10hipError_tPvRmT1_T2_T3_mT4_P12ihipStream_tbEUlT_E0_NS1_11comp_targetILNS1_3genE5ELNS1_11target_archE942ELNS1_3gpuE9ELNS1_3repE0EEENS1_30default_config_static_selectorELNS0_4arch9wavefront6targetE1EEEvSF_.uses_vcc, 0
	.set _ZN7rocprim17ROCPRIM_400000_NS6detail17trampoline_kernelINS0_14default_configENS1_22reduce_config_selectorI18summary_stats_dataIfEEEZNS1_11reduce_implILb1ES3_PS6_S9_S6_23summary_stats_binary_opIfEEE10hipError_tPvRmT1_T2_T3_mT4_P12ihipStream_tbEUlT_E0_NS1_11comp_targetILNS1_3genE5ELNS1_11target_archE942ELNS1_3gpuE9ELNS1_3repE0EEENS1_30default_config_static_selectorELNS0_4arch9wavefront6targetE1EEEvSF_.uses_flat_scratch, 0
	.set _ZN7rocprim17ROCPRIM_400000_NS6detail17trampoline_kernelINS0_14default_configENS1_22reduce_config_selectorI18summary_stats_dataIfEEEZNS1_11reduce_implILb1ES3_PS6_S9_S6_23summary_stats_binary_opIfEEE10hipError_tPvRmT1_T2_T3_mT4_P12ihipStream_tbEUlT_E0_NS1_11comp_targetILNS1_3genE5ELNS1_11target_archE942ELNS1_3gpuE9ELNS1_3repE0EEENS1_30default_config_static_selectorELNS0_4arch9wavefront6targetE1EEEvSF_.has_dyn_sized_stack, 0
	.set _ZN7rocprim17ROCPRIM_400000_NS6detail17trampoline_kernelINS0_14default_configENS1_22reduce_config_selectorI18summary_stats_dataIfEEEZNS1_11reduce_implILb1ES3_PS6_S9_S6_23summary_stats_binary_opIfEEE10hipError_tPvRmT1_T2_T3_mT4_P12ihipStream_tbEUlT_E0_NS1_11comp_targetILNS1_3genE5ELNS1_11target_archE942ELNS1_3gpuE9ELNS1_3repE0EEENS1_30default_config_static_selectorELNS0_4arch9wavefront6targetE1EEEvSF_.has_recursion, 0
	.set _ZN7rocprim17ROCPRIM_400000_NS6detail17trampoline_kernelINS0_14default_configENS1_22reduce_config_selectorI18summary_stats_dataIfEEEZNS1_11reduce_implILb1ES3_PS6_S9_S6_23summary_stats_binary_opIfEEE10hipError_tPvRmT1_T2_T3_mT4_P12ihipStream_tbEUlT_E0_NS1_11comp_targetILNS1_3genE5ELNS1_11target_archE942ELNS1_3gpuE9ELNS1_3repE0EEENS1_30default_config_static_selectorELNS0_4arch9wavefront6targetE1EEEvSF_.has_indirect_call, 0
	.section	.AMDGPU.csdata,"",@progbits
; Kernel info:
; codeLenInByte = 0
; TotalNumSgprs: 4
; NumVgprs: 0
; ScratchSize: 0
; MemoryBound: 0
; FloatMode: 240
; IeeeMode: 1
; LDSByteSize: 0 bytes/workgroup (compile time only)
; SGPRBlocks: 0
; VGPRBlocks: 0
; NumSGPRsForWavesPerEU: 4
; NumVGPRsForWavesPerEU: 1
; Occupancy: 10
; WaveLimiterHint : 0
; COMPUTE_PGM_RSRC2:SCRATCH_EN: 0
; COMPUTE_PGM_RSRC2:USER_SGPR: 6
; COMPUTE_PGM_RSRC2:TRAP_HANDLER: 0
; COMPUTE_PGM_RSRC2:TGID_X_EN: 1
; COMPUTE_PGM_RSRC2:TGID_Y_EN: 0
; COMPUTE_PGM_RSRC2:TGID_Z_EN: 0
; COMPUTE_PGM_RSRC2:TIDIG_COMP_CNT: 0
	.section	.text._ZN7rocprim17ROCPRIM_400000_NS6detail17trampoline_kernelINS0_14default_configENS1_22reduce_config_selectorI18summary_stats_dataIfEEEZNS1_11reduce_implILb1ES3_PS6_S9_S6_23summary_stats_binary_opIfEEE10hipError_tPvRmT1_T2_T3_mT4_P12ihipStream_tbEUlT_E0_NS1_11comp_targetILNS1_3genE4ELNS1_11target_archE910ELNS1_3gpuE8ELNS1_3repE0EEENS1_30default_config_static_selectorELNS0_4arch9wavefront6targetE1EEEvSF_,"axG",@progbits,_ZN7rocprim17ROCPRIM_400000_NS6detail17trampoline_kernelINS0_14default_configENS1_22reduce_config_selectorI18summary_stats_dataIfEEEZNS1_11reduce_implILb1ES3_PS6_S9_S6_23summary_stats_binary_opIfEEE10hipError_tPvRmT1_T2_T3_mT4_P12ihipStream_tbEUlT_E0_NS1_11comp_targetILNS1_3genE4ELNS1_11target_archE910ELNS1_3gpuE8ELNS1_3repE0EEENS1_30default_config_static_selectorELNS0_4arch9wavefront6targetE1EEEvSF_,comdat
	.protected	_ZN7rocprim17ROCPRIM_400000_NS6detail17trampoline_kernelINS0_14default_configENS1_22reduce_config_selectorI18summary_stats_dataIfEEEZNS1_11reduce_implILb1ES3_PS6_S9_S6_23summary_stats_binary_opIfEEE10hipError_tPvRmT1_T2_T3_mT4_P12ihipStream_tbEUlT_E0_NS1_11comp_targetILNS1_3genE4ELNS1_11target_archE910ELNS1_3gpuE8ELNS1_3repE0EEENS1_30default_config_static_selectorELNS0_4arch9wavefront6targetE1EEEvSF_ ; -- Begin function _ZN7rocprim17ROCPRIM_400000_NS6detail17trampoline_kernelINS0_14default_configENS1_22reduce_config_selectorI18summary_stats_dataIfEEEZNS1_11reduce_implILb1ES3_PS6_S9_S6_23summary_stats_binary_opIfEEE10hipError_tPvRmT1_T2_T3_mT4_P12ihipStream_tbEUlT_E0_NS1_11comp_targetILNS1_3genE4ELNS1_11target_archE910ELNS1_3gpuE8ELNS1_3repE0EEENS1_30default_config_static_selectorELNS0_4arch9wavefront6targetE1EEEvSF_
	.globl	_ZN7rocprim17ROCPRIM_400000_NS6detail17trampoline_kernelINS0_14default_configENS1_22reduce_config_selectorI18summary_stats_dataIfEEEZNS1_11reduce_implILb1ES3_PS6_S9_S6_23summary_stats_binary_opIfEEE10hipError_tPvRmT1_T2_T3_mT4_P12ihipStream_tbEUlT_E0_NS1_11comp_targetILNS1_3genE4ELNS1_11target_archE910ELNS1_3gpuE8ELNS1_3repE0EEENS1_30default_config_static_selectorELNS0_4arch9wavefront6targetE1EEEvSF_
	.p2align	8
	.type	_ZN7rocprim17ROCPRIM_400000_NS6detail17trampoline_kernelINS0_14default_configENS1_22reduce_config_selectorI18summary_stats_dataIfEEEZNS1_11reduce_implILb1ES3_PS6_S9_S6_23summary_stats_binary_opIfEEE10hipError_tPvRmT1_T2_T3_mT4_P12ihipStream_tbEUlT_E0_NS1_11comp_targetILNS1_3genE4ELNS1_11target_archE910ELNS1_3gpuE8ELNS1_3repE0EEENS1_30default_config_static_selectorELNS0_4arch9wavefront6targetE1EEEvSF_,@function
_ZN7rocprim17ROCPRIM_400000_NS6detail17trampoline_kernelINS0_14default_configENS1_22reduce_config_selectorI18summary_stats_dataIfEEEZNS1_11reduce_implILb1ES3_PS6_S9_S6_23summary_stats_binary_opIfEEE10hipError_tPvRmT1_T2_T3_mT4_P12ihipStream_tbEUlT_E0_NS1_11comp_targetILNS1_3genE4ELNS1_11target_archE910ELNS1_3gpuE8ELNS1_3repE0EEENS1_30default_config_static_selectorELNS0_4arch9wavefront6targetE1EEEvSF_: ; @_ZN7rocprim17ROCPRIM_400000_NS6detail17trampoline_kernelINS0_14default_configENS1_22reduce_config_selectorI18summary_stats_dataIfEEEZNS1_11reduce_implILb1ES3_PS6_S9_S6_23summary_stats_binary_opIfEEE10hipError_tPvRmT1_T2_T3_mT4_P12ihipStream_tbEUlT_E0_NS1_11comp_targetILNS1_3genE4ELNS1_11target_archE910ELNS1_3gpuE8ELNS1_3repE0EEENS1_30default_config_static_selectorELNS0_4arch9wavefront6targetE1EEEvSF_
; %bb.0:
	.section	.rodata,"a",@progbits
	.p2align	6, 0x0
	.amdhsa_kernel _ZN7rocprim17ROCPRIM_400000_NS6detail17trampoline_kernelINS0_14default_configENS1_22reduce_config_selectorI18summary_stats_dataIfEEEZNS1_11reduce_implILb1ES3_PS6_S9_S6_23summary_stats_binary_opIfEEE10hipError_tPvRmT1_T2_T3_mT4_P12ihipStream_tbEUlT_E0_NS1_11comp_targetILNS1_3genE4ELNS1_11target_archE910ELNS1_3gpuE8ELNS1_3repE0EEENS1_30default_config_static_selectorELNS0_4arch9wavefront6targetE1EEEvSF_
		.amdhsa_group_segment_fixed_size 0
		.amdhsa_private_segment_fixed_size 0
		.amdhsa_kernarg_size 80
		.amdhsa_user_sgpr_count 6
		.amdhsa_user_sgpr_private_segment_buffer 1
		.amdhsa_user_sgpr_dispatch_ptr 0
		.amdhsa_user_sgpr_queue_ptr 0
		.amdhsa_user_sgpr_kernarg_segment_ptr 1
		.amdhsa_user_sgpr_dispatch_id 0
		.amdhsa_user_sgpr_flat_scratch_init 0
		.amdhsa_user_sgpr_private_segment_size 0
		.amdhsa_uses_dynamic_stack 0
		.amdhsa_system_sgpr_private_segment_wavefront_offset 0
		.amdhsa_system_sgpr_workgroup_id_x 1
		.amdhsa_system_sgpr_workgroup_id_y 0
		.amdhsa_system_sgpr_workgroup_id_z 0
		.amdhsa_system_sgpr_workgroup_info 0
		.amdhsa_system_vgpr_workitem_id 0
		.amdhsa_next_free_vgpr 1
		.amdhsa_next_free_sgpr 0
		.amdhsa_reserve_vcc 0
		.amdhsa_reserve_flat_scratch 0
		.amdhsa_float_round_mode_32 0
		.amdhsa_float_round_mode_16_64 0
		.amdhsa_float_denorm_mode_32 3
		.amdhsa_float_denorm_mode_16_64 3
		.amdhsa_dx10_clamp 1
		.amdhsa_ieee_mode 1
		.amdhsa_fp16_overflow 0
		.amdhsa_exception_fp_ieee_invalid_op 0
		.amdhsa_exception_fp_denorm_src 0
		.amdhsa_exception_fp_ieee_div_zero 0
		.amdhsa_exception_fp_ieee_overflow 0
		.amdhsa_exception_fp_ieee_underflow 0
		.amdhsa_exception_fp_ieee_inexact 0
		.amdhsa_exception_int_div_zero 0
	.end_amdhsa_kernel
	.section	.text._ZN7rocprim17ROCPRIM_400000_NS6detail17trampoline_kernelINS0_14default_configENS1_22reduce_config_selectorI18summary_stats_dataIfEEEZNS1_11reduce_implILb1ES3_PS6_S9_S6_23summary_stats_binary_opIfEEE10hipError_tPvRmT1_T2_T3_mT4_P12ihipStream_tbEUlT_E0_NS1_11comp_targetILNS1_3genE4ELNS1_11target_archE910ELNS1_3gpuE8ELNS1_3repE0EEENS1_30default_config_static_selectorELNS0_4arch9wavefront6targetE1EEEvSF_,"axG",@progbits,_ZN7rocprim17ROCPRIM_400000_NS6detail17trampoline_kernelINS0_14default_configENS1_22reduce_config_selectorI18summary_stats_dataIfEEEZNS1_11reduce_implILb1ES3_PS6_S9_S6_23summary_stats_binary_opIfEEE10hipError_tPvRmT1_T2_T3_mT4_P12ihipStream_tbEUlT_E0_NS1_11comp_targetILNS1_3genE4ELNS1_11target_archE910ELNS1_3gpuE8ELNS1_3repE0EEENS1_30default_config_static_selectorELNS0_4arch9wavefront6targetE1EEEvSF_,comdat
.Lfunc_end2:
	.size	_ZN7rocprim17ROCPRIM_400000_NS6detail17trampoline_kernelINS0_14default_configENS1_22reduce_config_selectorI18summary_stats_dataIfEEEZNS1_11reduce_implILb1ES3_PS6_S9_S6_23summary_stats_binary_opIfEEE10hipError_tPvRmT1_T2_T3_mT4_P12ihipStream_tbEUlT_E0_NS1_11comp_targetILNS1_3genE4ELNS1_11target_archE910ELNS1_3gpuE8ELNS1_3repE0EEENS1_30default_config_static_selectorELNS0_4arch9wavefront6targetE1EEEvSF_, .Lfunc_end2-_ZN7rocprim17ROCPRIM_400000_NS6detail17trampoline_kernelINS0_14default_configENS1_22reduce_config_selectorI18summary_stats_dataIfEEEZNS1_11reduce_implILb1ES3_PS6_S9_S6_23summary_stats_binary_opIfEEE10hipError_tPvRmT1_T2_T3_mT4_P12ihipStream_tbEUlT_E0_NS1_11comp_targetILNS1_3genE4ELNS1_11target_archE910ELNS1_3gpuE8ELNS1_3repE0EEENS1_30default_config_static_selectorELNS0_4arch9wavefront6targetE1EEEvSF_
                                        ; -- End function
	.set _ZN7rocprim17ROCPRIM_400000_NS6detail17trampoline_kernelINS0_14default_configENS1_22reduce_config_selectorI18summary_stats_dataIfEEEZNS1_11reduce_implILb1ES3_PS6_S9_S6_23summary_stats_binary_opIfEEE10hipError_tPvRmT1_T2_T3_mT4_P12ihipStream_tbEUlT_E0_NS1_11comp_targetILNS1_3genE4ELNS1_11target_archE910ELNS1_3gpuE8ELNS1_3repE0EEENS1_30default_config_static_selectorELNS0_4arch9wavefront6targetE1EEEvSF_.num_vgpr, 0
	.set _ZN7rocprim17ROCPRIM_400000_NS6detail17trampoline_kernelINS0_14default_configENS1_22reduce_config_selectorI18summary_stats_dataIfEEEZNS1_11reduce_implILb1ES3_PS6_S9_S6_23summary_stats_binary_opIfEEE10hipError_tPvRmT1_T2_T3_mT4_P12ihipStream_tbEUlT_E0_NS1_11comp_targetILNS1_3genE4ELNS1_11target_archE910ELNS1_3gpuE8ELNS1_3repE0EEENS1_30default_config_static_selectorELNS0_4arch9wavefront6targetE1EEEvSF_.num_agpr, 0
	.set _ZN7rocprim17ROCPRIM_400000_NS6detail17trampoline_kernelINS0_14default_configENS1_22reduce_config_selectorI18summary_stats_dataIfEEEZNS1_11reduce_implILb1ES3_PS6_S9_S6_23summary_stats_binary_opIfEEE10hipError_tPvRmT1_T2_T3_mT4_P12ihipStream_tbEUlT_E0_NS1_11comp_targetILNS1_3genE4ELNS1_11target_archE910ELNS1_3gpuE8ELNS1_3repE0EEENS1_30default_config_static_selectorELNS0_4arch9wavefront6targetE1EEEvSF_.numbered_sgpr, 0
	.set _ZN7rocprim17ROCPRIM_400000_NS6detail17trampoline_kernelINS0_14default_configENS1_22reduce_config_selectorI18summary_stats_dataIfEEEZNS1_11reduce_implILb1ES3_PS6_S9_S6_23summary_stats_binary_opIfEEE10hipError_tPvRmT1_T2_T3_mT4_P12ihipStream_tbEUlT_E0_NS1_11comp_targetILNS1_3genE4ELNS1_11target_archE910ELNS1_3gpuE8ELNS1_3repE0EEENS1_30default_config_static_selectorELNS0_4arch9wavefront6targetE1EEEvSF_.num_named_barrier, 0
	.set _ZN7rocprim17ROCPRIM_400000_NS6detail17trampoline_kernelINS0_14default_configENS1_22reduce_config_selectorI18summary_stats_dataIfEEEZNS1_11reduce_implILb1ES3_PS6_S9_S6_23summary_stats_binary_opIfEEE10hipError_tPvRmT1_T2_T3_mT4_P12ihipStream_tbEUlT_E0_NS1_11comp_targetILNS1_3genE4ELNS1_11target_archE910ELNS1_3gpuE8ELNS1_3repE0EEENS1_30default_config_static_selectorELNS0_4arch9wavefront6targetE1EEEvSF_.private_seg_size, 0
	.set _ZN7rocprim17ROCPRIM_400000_NS6detail17trampoline_kernelINS0_14default_configENS1_22reduce_config_selectorI18summary_stats_dataIfEEEZNS1_11reduce_implILb1ES3_PS6_S9_S6_23summary_stats_binary_opIfEEE10hipError_tPvRmT1_T2_T3_mT4_P12ihipStream_tbEUlT_E0_NS1_11comp_targetILNS1_3genE4ELNS1_11target_archE910ELNS1_3gpuE8ELNS1_3repE0EEENS1_30default_config_static_selectorELNS0_4arch9wavefront6targetE1EEEvSF_.uses_vcc, 0
	.set _ZN7rocprim17ROCPRIM_400000_NS6detail17trampoline_kernelINS0_14default_configENS1_22reduce_config_selectorI18summary_stats_dataIfEEEZNS1_11reduce_implILb1ES3_PS6_S9_S6_23summary_stats_binary_opIfEEE10hipError_tPvRmT1_T2_T3_mT4_P12ihipStream_tbEUlT_E0_NS1_11comp_targetILNS1_3genE4ELNS1_11target_archE910ELNS1_3gpuE8ELNS1_3repE0EEENS1_30default_config_static_selectorELNS0_4arch9wavefront6targetE1EEEvSF_.uses_flat_scratch, 0
	.set _ZN7rocprim17ROCPRIM_400000_NS6detail17trampoline_kernelINS0_14default_configENS1_22reduce_config_selectorI18summary_stats_dataIfEEEZNS1_11reduce_implILb1ES3_PS6_S9_S6_23summary_stats_binary_opIfEEE10hipError_tPvRmT1_T2_T3_mT4_P12ihipStream_tbEUlT_E0_NS1_11comp_targetILNS1_3genE4ELNS1_11target_archE910ELNS1_3gpuE8ELNS1_3repE0EEENS1_30default_config_static_selectorELNS0_4arch9wavefront6targetE1EEEvSF_.has_dyn_sized_stack, 0
	.set _ZN7rocprim17ROCPRIM_400000_NS6detail17trampoline_kernelINS0_14default_configENS1_22reduce_config_selectorI18summary_stats_dataIfEEEZNS1_11reduce_implILb1ES3_PS6_S9_S6_23summary_stats_binary_opIfEEE10hipError_tPvRmT1_T2_T3_mT4_P12ihipStream_tbEUlT_E0_NS1_11comp_targetILNS1_3genE4ELNS1_11target_archE910ELNS1_3gpuE8ELNS1_3repE0EEENS1_30default_config_static_selectorELNS0_4arch9wavefront6targetE1EEEvSF_.has_recursion, 0
	.set _ZN7rocprim17ROCPRIM_400000_NS6detail17trampoline_kernelINS0_14default_configENS1_22reduce_config_selectorI18summary_stats_dataIfEEEZNS1_11reduce_implILb1ES3_PS6_S9_S6_23summary_stats_binary_opIfEEE10hipError_tPvRmT1_T2_T3_mT4_P12ihipStream_tbEUlT_E0_NS1_11comp_targetILNS1_3genE4ELNS1_11target_archE910ELNS1_3gpuE8ELNS1_3repE0EEENS1_30default_config_static_selectorELNS0_4arch9wavefront6targetE1EEEvSF_.has_indirect_call, 0
	.section	.AMDGPU.csdata,"",@progbits
; Kernel info:
; codeLenInByte = 0
; TotalNumSgprs: 4
; NumVgprs: 0
; ScratchSize: 0
; MemoryBound: 0
; FloatMode: 240
; IeeeMode: 1
; LDSByteSize: 0 bytes/workgroup (compile time only)
; SGPRBlocks: 0
; VGPRBlocks: 0
; NumSGPRsForWavesPerEU: 4
; NumVGPRsForWavesPerEU: 1
; Occupancy: 10
; WaveLimiterHint : 0
; COMPUTE_PGM_RSRC2:SCRATCH_EN: 0
; COMPUTE_PGM_RSRC2:USER_SGPR: 6
; COMPUTE_PGM_RSRC2:TRAP_HANDLER: 0
; COMPUTE_PGM_RSRC2:TGID_X_EN: 1
; COMPUTE_PGM_RSRC2:TGID_Y_EN: 0
; COMPUTE_PGM_RSRC2:TGID_Z_EN: 0
; COMPUTE_PGM_RSRC2:TIDIG_COMP_CNT: 0
	.section	.text._ZN7rocprim17ROCPRIM_400000_NS6detail17trampoline_kernelINS0_14default_configENS1_22reduce_config_selectorI18summary_stats_dataIfEEEZNS1_11reduce_implILb1ES3_PS6_S9_S6_23summary_stats_binary_opIfEEE10hipError_tPvRmT1_T2_T3_mT4_P12ihipStream_tbEUlT_E0_NS1_11comp_targetILNS1_3genE3ELNS1_11target_archE908ELNS1_3gpuE7ELNS1_3repE0EEENS1_30default_config_static_selectorELNS0_4arch9wavefront6targetE1EEEvSF_,"axG",@progbits,_ZN7rocprim17ROCPRIM_400000_NS6detail17trampoline_kernelINS0_14default_configENS1_22reduce_config_selectorI18summary_stats_dataIfEEEZNS1_11reduce_implILb1ES3_PS6_S9_S6_23summary_stats_binary_opIfEEE10hipError_tPvRmT1_T2_T3_mT4_P12ihipStream_tbEUlT_E0_NS1_11comp_targetILNS1_3genE3ELNS1_11target_archE908ELNS1_3gpuE7ELNS1_3repE0EEENS1_30default_config_static_selectorELNS0_4arch9wavefront6targetE1EEEvSF_,comdat
	.protected	_ZN7rocprim17ROCPRIM_400000_NS6detail17trampoline_kernelINS0_14default_configENS1_22reduce_config_selectorI18summary_stats_dataIfEEEZNS1_11reduce_implILb1ES3_PS6_S9_S6_23summary_stats_binary_opIfEEE10hipError_tPvRmT1_T2_T3_mT4_P12ihipStream_tbEUlT_E0_NS1_11comp_targetILNS1_3genE3ELNS1_11target_archE908ELNS1_3gpuE7ELNS1_3repE0EEENS1_30default_config_static_selectorELNS0_4arch9wavefront6targetE1EEEvSF_ ; -- Begin function _ZN7rocprim17ROCPRIM_400000_NS6detail17trampoline_kernelINS0_14default_configENS1_22reduce_config_selectorI18summary_stats_dataIfEEEZNS1_11reduce_implILb1ES3_PS6_S9_S6_23summary_stats_binary_opIfEEE10hipError_tPvRmT1_T2_T3_mT4_P12ihipStream_tbEUlT_E0_NS1_11comp_targetILNS1_3genE3ELNS1_11target_archE908ELNS1_3gpuE7ELNS1_3repE0EEENS1_30default_config_static_selectorELNS0_4arch9wavefront6targetE1EEEvSF_
	.globl	_ZN7rocprim17ROCPRIM_400000_NS6detail17trampoline_kernelINS0_14default_configENS1_22reduce_config_selectorI18summary_stats_dataIfEEEZNS1_11reduce_implILb1ES3_PS6_S9_S6_23summary_stats_binary_opIfEEE10hipError_tPvRmT1_T2_T3_mT4_P12ihipStream_tbEUlT_E0_NS1_11comp_targetILNS1_3genE3ELNS1_11target_archE908ELNS1_3gpuE7ELNS1_3repE0EEENS1_30default_config_static_selectorELNS0_4arch9wavefront6targetE1EEEvSF_
	.p2align	8
	.type	_ZN7rocprim17ROCPRIM_400000_NS6detail17trampoline_kernelINS0_14default_configENS1_22reduce_config_selectorI18summary_stats_dataIfEEEZNS1_11reduce_implILb1ES3_PS6_S9_S6_23summary_stats_binary_opIfEEE10hipError_tPvRmT1_T2_T3_mT4_P12ihipStream_tbEUlT_E0_NS1_11comp_targetILNS1_3genE3ELNS1_11target_archE908ELNS1_3gpuE7ELNS1_3repE0EEENS1_30default_config_static_selectorELNS0_4arch9wavefront6targetE1EEEvSF_,@function
_ZN7rocprim17ROCPRIM_400000_NS6detail17trampoline_kernelINS0_14default_configENS1_22reduce_config_selectorI18summary_stats_dataIfEEEZNS1_11reduce_implILb1ES3_PS6_S9_S6_23summary_stats_binary_opIfEEE10hipError_tPvRmT1_T2_T3_mT4_P12ihipStream_tbEUlT_E0_NS1_11comp_targetILNS1_3genE3ELNS1_11target_archE908ELNS1_3gpuE7ELNS1_3repE0EEENS1_30default_config_static_selectorELNS0_4arch9wavefront6targetE1EEEvSF_: ; @_ZN7rocprim17ROCPRIM_400000_NS6detail17trampoline_kernelINS0_14default_configENS1_22reduce_config_selectorI18summary_stats_dataIfEEEZNS1_11reduce_implILb1ES3_PS6_S9_S6_23summary_stats_binary_opIfEEE10hipError_tPvRmT1_T2_T3_mT4_P12ihipStream_tbEUlT_E0_NS1_11comp_targetILNS1_3genE3ELNS1_11target_archE908ELNS1_3gpuE7ELNS1_3repE0EEENS1_30default_config_static_selectorELNS0_4arch9wavefront6targetE1EEEvSF_
; %bb.0:
	.section	.rodata,"a",@progbits
	.p2align	6, 0x0
	.amdhsa_kernel _ZN7rocprim17ROCPRIM_400000_NS6detail17trampoline_kernelINS0_14default_configENS1_22reduce_config_selectorI18summary_stats_dataIfEEEZNS1_11reduce_implILb1ES3_PS6_S9_S6_23summary_stats_binary_opIfEEE10hipError_tPvRmT1_T2_T3_mT4_P12ihipStream_tbEUlT_E0_NS1_11comp_targetILNS1_3genE3ELNS1_11target_archE908ELNS1_3gpuE7ELNS1_3repE0EEENS1_30default_config_static_selectorELNS0_4arch9wavefront6targetE1EEEvSF_
		.amdhsa_group_segment_fixed_size 0
		.amdhsa_private_segment_fixed_size 0
		.amdhsa_kernarg_size 80
		.amdhsa_user_sgpr_count 6
		.amdhsa_user_sgpr_private_segment_buffer 1
		.amdhsa_user_sgpr_dispatch_ptr 0
		.amdhsa_user_sgpr_queue_ptr 0
		.amdhsa_user_sgpr_kernarg_segment_ptr 1
		.amdhsa_user_sgpr_dispatch_id 0
		.amdhsa_user_sgpr_flat_scratch_init 0
		.amdhsa_user_sgpr_private_segment_size 0
		.amdhsa_uses_dynamic_stack 0
		.amdhsa_system_sgpr_private_segment_wavefront_offset 0
		.amdhsa_system_sgpr_workgroup_id_x 1
		.amdhsa_system_sgpr_workgroup_id_y 0
		.amdhsa_system_sgpr_workgroup_id_z 0
		.amdhsa_system_sgpr_workgroup_info 0
		.amdhsa_system_vgpr_workitem_id 0
		.amdhsa_next_free_vgpr 1
		.amdhsa_next_free_sgpr 0
		.amdhsa_reserve_vcc 0
		.amdhsa_reserve_flat_scratch 0
		.amdhsa_float_round_mode_32 0
		.amdhsa_float_round_mode_16_64 0
		.amdhsa_float_denorm_mode_32 3
		.amdhsa_float_denorm_mode_16_64 3
		.amdhsa_dx10_clamp 1
		.amdhsa_ieee_mode 1
		.amdhsa_fp16_overflow 0
		.amdhsa_exception_fp_ieee_invalid_op 0
		.amdhsa_exception_fp_denorm_src 0
		.amdhsa_exception_fp_ieee_div_zero 0
		.amdhsa_exception_fp_ieee_overflow 0
		.amdhsa_exception_fp_ieee_underflow 0
		.amdhsa_exception_fp_ieee_inexact 0
		.amdhsa_exception_int_div_zero 0
	.end_amdhsa_kernel
	.section	.text._ZN7rocprim17ROCPRIM_400000_NS6detail17trampoline_kernelINS0_14default_configENS1_22reduce_config_selectorI18summary_stats_dataIfEEEZNS1_11reduce_implILb1ES3_PS6_S9_S6_23summary_stats_binary_opIfEEE10hipError_tPvRmT1_T2_T3_mT4_P12ihipStream_tbEUlT_E0_NS1_11comp_targetILNS1_3genE3ELNS1_11target_archE908ELNS1_3gpuE7ELNS1_3repE0EEENS1_30default_config_static_selectorELNS0_4arch9wavefront6targetE1EEEvSF_,"axG",@progbits,_ZN7rocprim17ROCPRIM_400000_NS6detail17trampoline_kernelINS0_14default_configENS1_22reduce_config_selectorI18summary_stats_dataIfEEEZNS1_11reduce_implILb1ES3_PS6_S9_S6_23summary_stats_binary_opIfEEE10hipError_tPvRmT1_T2_T3_mT4_P12ihipStream_tbEUlT_E0_NS1_11comp_targetILNS1_3genE3ELNS1_11target_archE908ELNS1_3gpuE7ELNS1_3repE0EEENS1_30default_config_static_selectorELNS0_4arch9wavefront6targetE1EEEvSF_,comdat
.Lfunc_end3:
	.size	_ZN7rocprim17ROCPRIM_400000_NS6detail17trampoline_kernelINS0_14default_configENS1_22reduce_config_selectorI18summary_stats_dataIfEEEZNS1_11reduce_implILb1ES3_PS6_S9_S6_23summary_stats_binary_opIfEEE10hipError_tPvRmT1_T2_T3_mT4_P12ihipStream_tbEUlT_E0_NS1_11comp_targetILNS1_3genE3ELNS1_11target_archE908ELNS1_3gpuE7ELNS1_3repE0EEENS1_30default_config_static_selectorELNS0_4arch9wavefront6targetE1EEEvSF_, .Lfunc_end3-_ZN7rocprim17ROCPRIM_400000_NS6detail17trampoline_kernelINS0_14default_configENS1_22reduce_config_selectorI18summary_stats_dataIfEEEZNS1_11reduce_implILb1ES3_PS6_S9_S6_23summary_stats_binary_opIfEEE10hipError_tPvRmT1_T2_T3_mT4_P12ihipStream_tbEUlT_E0_NS1_11comp_targetILNS1_3genE3ELNS1_11target_archE908ELNS1_3gpuE7ELNS1_3repE0EEENS1_30default_config_static_selectorELNS0_4arch9wavefront6targetE1EEEvSF_
                                        ; -- End function
	.set _ZN7rocprim17ROCPRIM_400000_NS6detail17trampoline_kernelINS0_14default_configENS1_22reduce_config_selectorI18summary_stats_dataIfEEEZNS1_11reduce_implILb1ES3_PS6_S9_S6_23summary_stats_binary_opIfEEE10hipError_tPvRmT1_T2_T3_mT4_P12ihipStream_tbEUlT_E0_NS1_11comp_targetILNS1_3genE3ELNS1_11target_archE908ELNS1_3gpuE7ELNS1_3repE0EEENS1_30default_config_static_selectorELNS0_4arch9wavefront6targetE1EEEvSF_.num_vgpr, 0
	.set _ZN7rocprim17ROCPRIM_400000_NS6detail17trampoline_kernelINS0_14default_configENS1_22reduce_config_selectorI18summary_stats_dataIfEEEZNS1_11reduce_implILb1ES3_PS6_S9_S6_23summary_stats_binary_opIfEEE10hipError_tPvRmT1_T2_T3_mT4_P12ihipStream_tbEUlT_E0_NS1_11comp_targetILNS1_3genE3ELNS1_11target_archE908ELNS1_3gpuE7ELNS1_3repE0EEENS1_30default_config_static_selectorELNS0_4arch9wavefront6targetE1EEEvSF_.num_agpr, 0
	.set _ZN7rocprim17ROCPRIM_400000_NS6detail17trampoline_kernelINS0_14default_configENS1_22reduce_config_selectorI18summary_stats_dataIfEEEZNS1_11reduce_implILb1ES3_PS6_S9_S6_23summary_stats_binary_opIfEEE10hipError_tPvRmT1_T2_T3_mT4_P12ihipStream_tbEUlT_E0_NS1_11comp_targetILNS1_3genE3ELNS1_11target_archE908ELNS1_3gpuE7ELNS1_3repE0EEENS1_30default_config_static_selectorELNS0_4arch9wavefront6targetE1EEEvSF_.numbered_sgpr, 0
	.set _ZN7rocprim17ROCPRIM_400000_NS6detail17trampoline_kernelINS0_14default_configENS1_22reduce_config_selectorI18summary_stats_dataIfEEEZNS1_11reduce_implILb1ES3_PS6_S9_S6_23summary_stats_binary_opIfEEE10hipError_tPvRmT1_T2_T3_mT4_P12ihipStream_tbEUlT_E0_NS1_11comp_targetILNS1_3genE3ELNS1_11target_archE908ELNS1_3gpuE7ELNS1_3repE0EEENS1_30default_config_static_selectorELNS0_4arch9wavefront6targetE1EEEvSF_.num_named_barrier, 0
	.set _ZN7rocprim17ROCPRIM_400000_NS6detail17trampoline_kernelINS0_14default_configENS1_22reduce_config_selectorI18summary_stats_dataIfEEEZNS1_11reduce_implILb1ES3_PS6_S9_S6_23summary_stats_binary_opIfEEE10hipError_tPvRmT1_T2_T3_mT4_P12ihipStream_tbEUlT_E0_NS1_11comp_targetILNS1_3genE3ELNS1_11target_archE908ELNS1_3gpuE7ELNS1_3repE0EEENS1_30default_config_static_selectorELNS0_4arch9wavefront6targetE1EEEvSF_.private_seg_size, 0
	.set _ZN7rocprim17ROCPRIM_400000_NS6detail17trampoline_kernelINS0_14default_configENS1_22reduce_config_selectorI18summary_stats_dataIfEEEZNS1_11reduce_implILb1ES3_PS6_S9_S6_23summary_stats_binary_opIfEEE10hipError_tPvRmT1_T2_T3_mT4_P12ihipStream_tbEUlT_E0_NS1_11comp_targetILNS1_3genE3ELNS1_11target_archE908ELNS1_3gpuE7ELNS1_3repE0EEENS1_30default_config_static_selectorELNS0_4arch9wavefront6targetE1EEEvSF_.uses_vcc, 0
	.set _ZN7rocprim17ROCPRIM_400000_NS6detail17trampoline_kernelINS0_14default_configENS1_22reduce_config_selectorI18summary_stats_dataIfEEEZNS1_11reduce_implILb1ES3_PS6_S9_S6_23summary_stats_binary_opIfEEE10hipError_tPvRmT1_T2_T3_mT4_P12ihipStream_tbEUlT_E0_NS1_11comp_targetILNS1_3genE3ELNS1_11target_archE908ELNS1_3gpuE7ELNS1_3repE0EEENS1_30default_config_static_selectorELNS0_4arch9wavefront6targetE1EEEvSF_.uses_flat_scratch, 0
	.set _ZN7rocprim17ROCPRIM_400000_NS6detail17trampoline_kernelINS0_14default_configENS1_22reduce_config_selectorI18summary_stats_dataIfEEEZNS1_11reduce_implILb1ES3_PS6_S9_S6_23summary_stats_binary_opIfEEE10hipError_tPvRmT1_T2_T3_mT4_P12ihipStream_tbEUlT_E0_NS1_11comp_targetILNS1_3genE3ELNS1_11target_archE908ELNS1_3gpuE7ELNS1_3repE0EEENS1_30default_config_static_selectorELNS0_4arch9wavefront6targetE1EEEvSF_.has_dyn_sized_stack, 0
	.set _ZN7rocprim17ROCPRIM_400000_NS6detail17trampoline_kernelINS0_14default_configENS1_22reduce_config_selectorI18summary_stats_dataIfEEEZNS1_11reduce_implILb1ES3_PS6_S9_S6_23summary_stats_binary_opIfEEE10hipError_tPvRmT1_T2_T3_mT4_P12ihipStream_tbEUlT_E0_NS1_11comp_targetILNS1_3genE3ELNS1_11target_archE908ELNS1_3gpuE7ELNS1_3repE0EEENS1_30default_config_static_selectorELNS0_4arch9wavefront6targetE1EEEvSF_.has_recursion, 0
	.set _ZN7rocprim17ROCPRIM_400000_NS6detail17trampoline_kernelINS0_14default_configENS1_22reduce_config_selectorI18summary_stats_dataIfEEEZNS1_11reduce_implILb1ES3_PS6_S9_S6_23summary_stats_binary_opIfEEE10hipError_tPvRmT1_T2_T3_mT4_P12ihipStream_tbEUlT_E0_NS1_11comp_targetILNS1_3genE3ELNS1_11target_archE908ELNS1_3gpuE7ELNS1_3repE0EEENS1_30default_config_static_selectorELNS0_4arch9wavefront6targetE1EEEvSF_.has_indirect_call, 0
	.section	.AMDGPU.csdata,"",@progbits
; Kernel info:
; codeLenInByte = 0
; TotalNumSgprs: 4
; NumVgprs: 0
; ScratchSize: 0
; MemoryBound: 0
; FloatMode: 240
; IeeeMode: 1
; LDSByteSize: 0 bytes/workgroup (compile time only)
; SGPRBlocks: 0
; VGPRBlocks: 0
; NumSGPRsForWavesPerEU: 4
; NumVGPRsForWavesPerEU: 1
; Occupancy: 10
; WaveLimiterHint : 0
; COMPUTE_PGM_RSRC2:SCRATCH_EN: 0
; COMPUTE_PGM_RSRC2:USER_SGPR: 6
; COMPUTE_PGM_RSRC2:TRAP_HANDLER: 0
; COMPUTE_PGM_RSRC2:TGID_X_EN: 1
; COMPUTE_PGM_RSRC2:TGID_Y_EN: 0
; COMPUTE_PGM_RSRC2:TGID_Z_EN: 0
; COMPUTE_PGM_RSRC2:TIDIG_COMP_CNT: 0
	.section	.text._ZN7rocprim17ROCPRIM_400000_NS6detail17trampoline_kernelINS0_14default_configENS1_22reduce_config_selectorI18summary_stats_dataIfEEEZNS1_11reduce_implILb1ES3_PS6_S9_S6_23summary_stats_binary_opIfEEE10hipError_tPvRmT1_T2_T3_mT4_P12ihipStream_tbEUlT_E0_NS1_11comp_targetILNS1_3genE2ELNS1_11target_archE906ELNS1_3gpuE6ELNS1_3repE0EEENS1_30default_config_static_selectorELNS0_4arch9wavefront6targetE1EEEvSF_,"axG",@progbits,_ZN7rocprim17ROCPRIM_400000_NS6detail17trampoline_kernelINS0_14default_configENS1_22reduce_config_selectorI18summary_stats_dataIfEEEZNS1_11reduce_implILb1ES3_PS6_S9_S6_23summary_stats_binary_opIfEEE10hipError_tPvRmT1_T2_T3_mT4_P12ihipStream_tbEUlT_E0_NS1_11comp_targetILNS1_3genE2ELNS1_11target_archE906ELNS1_3gpuE6ELNS1_3repE0EEENS1_30default_config_static_selectorELNS0_4arch9wavefront6targetE1EEEvSF_,comdat
	.protected	_ZN7rocprim17ROCPRIM_400000_NS6detail17trampoline_kernelINS0_14default_configENS1_22reduce_config_selectorI18summary_stats_dataIfEEEZNS1_11reduce_implILb1ES3_PS6_S9_S6_23summary_stats_binary_opIfEEE10hipError_tPvRmT1_T2_T3_mT4_P12ihipStream_tbEUlT_E0_NS1_11comp_targetILNS1_3genE2ELNS1_11target_archE906ELNS1_3gpuE6ELNS1_3repE0EEENS1_30default_config_static_selectorELNS0_4arch9wavefront6targetE1EEEvSF_ ; -- Begin function _ZN7rocprim17ROCPRIM_400000_NS6detail17trampoline_kernelINS0_14default_configENS1_22reduce_config_selectorI18summary_stats_dataIfEEEZNS1_11reduce_implILb1ES3_PS6_S9_S6_23summary_stats_binary_opIfEEE10hipError_tPvRmT1_T2_T3_mT4_P12ihipStream_tbEUlT_E0_NS1_11comp_targetILNS1_3genE2ELNS1_11target_archE906ELNS1_3gpuE6ELNS1_3repE0EEENS1_30default_config_static_selectorELNS0_4arch9wavefront6targetE1EEEvSF_
	.globl	_ZN7rocprim17ROCPRIM_400000_NS6detail17trampoline_kernelINS0_14default_configENS1_22reduce_config_selectorI18summary_stats_dataIfEEEZNS1_11reduce_implILb1ES3_PS6_S9_S6_23summary_stats_binary_opIfEEE10hipError_tPvRmT1_T2_T3_mT4_P12ihipStream_tbEUlT_E0_NS1_11comp_targetILNS1_3genE2ELNS1_11target_archE906ELNS1_3gpuE6ELNS1_3repE0EEENS1_30default_config_static_selectorELNS0_4arch9wavefront6targetE1EEEvSF_
	.p2align	8
	.type	_ZN7rocprim17ROCPRIM_400000_NS6detail17trampoline_kernelINS0_14default_configENS1_22reduce_config_selectorI18summary_stats_dataIfEEEZNS1_11reduce_implILb1ES3_PS6_S9_S6_23summary_stats_binary_opIfEEE10hipError_tPvRmT1_T2_T3_mT4_P12ihipStream_tbEUlT_E0_NS1_11comp_targetILNS1_3genE2ELNS1_11target_archE906ELNS1_3gpuE6ELNS1_3repE0EEENS1_30default_config_static_selectorELNS0_4arch9wavefront6targetE1EEEvSF_,@function
_ZN7rocprim17ROCPRIM_400000_NS6detail17trampoline_kernelINS0_14default_configENS1_22reduce_config_selectorI18summary_stats_dataIfEEEZNS1_11reduce_implILb1ES3_PS6_S9_S6_23summary_stats_binary_opIfEEE10hipError_tPvRmT1_T2_T3_mT4_P12ihipStream_tbEUlT_E0_NS1_11comp_targetILNS1_3genE2ELNS1_11target_archE906ELNS1_3gpuE6ELNS1_3repE0EEENS1_30default_config_static_selectorELNS0_4arch9wavefront6targetE1EEEvSF_: ; @_ZN7rocprim17ROCPRIM_400000_NS6detail17trampoline_kernelINS0_14default_configENS1_22reduce_config_selectorI18summary_stats_dataIfEEEZNS1_11reduce_implILb1ES3_PS6_S9_S6_23summary_stats_binary_opIfEEE10hipError_tPvRmT1_T2_T3_mT4_P12ihipStream_tbEUlT_E0_NS1_11comp_targetILNS1_3genE2ELNS1_11target_archE906ELNS1_3gpuE6ELNS1_3repE0EEENS1_30default_config_static_selectorELNS0_4arch9wavefront6targetE1EEEvSF_
; %bb.0:
	s_load_dwordx8 s[8:15], s[4:5], 0x0
	s_load_dwordx8 s[16:23], s[4:5], 0x20
	s_load_dwordx4 s[24:27], s[4:5], 0x40
	s_mul_i32 s4, s6, 0x3800
	s_mov_b32 s7, 0
	s_waitcnt lgkmcnt(0)
	s_mul_i32 s0, s11, 28
	s_mul_hi_u32 s1, s10, 28
	s_add_i32 s1, s1, s0
	s_mul_i32 s0, s10, 28
	s_add_u32 s2, s8, s0
	s_addc_u32 s3, s9, s1
	s_lshl_b32 s27, s6, 9
	s_lshr_b64 s[0:1], s[12:13], 9
	s_mul_hi_u32 s5, s27, 28
	s_add_u32 s28, s2, s4
	s_addc_u32 s29, s3, s5
	s_cmp_lg_u64 s[0:1], s[6:7]
	v_mbcnt_lo_u32_b32 v5, -1, 0
	s_cbranch_scc0 .LBB4_6
; %bb.1:
	v_mad_u64_u32 v[13:14], s[0:1], v0, 28, s[28:29]
	v_add_co_u32_e32 v15, vcc, 0x1c00, v13
	s_mov_b64 s[0:1], vcc
	v_add_co_u32_e32 v16, vcc, 0x1000, v13
	global_load_dwordx4 v[1:4], v[13:14], off
	v_addc_co_u32_e32 v17, vcc, 0, v14, vcc
	global_load_dwordx4 v[6:9], v[16:17], off offset:3072
	global_load_dwordx3 v[10:12], v[13:14], off offset:16
	v_addc_co_u32_e64 v16, vcc, 0, v14, s[0:1]
	global_load_dwordx3 v[13:15], v[15:16], off offset:16
	s_waitcnt vmcnt(3)
	v_mul_f32_e32 v16, v1, v1
	s_waitcnt vmcnt(2)
	v_cmp_lt_f32_e32 vcc, v7, v2
	v_sub_f32_e32 v9, v9, v4
	v_cndmask_b32_e32 v2, v2, v7, vcc
	v_cmp_lt_f32_e32 vcc, v3, v8
	s_waitcnt vmcnt(1)
	v_mul_f32_e32 v20, v10, v6
	v_mul_f32_e32 v17, v6, v6
	v_add_f32_e32 v18, v1, v6
	v_cndmask_b32_e32 v3, v3, v8, vcc
	s_waitcnt vmcnt(0)
	v_add_f32_e32 v7, v10, v13
	v_add_f32_e32 v8, v11, v14
	;; [unrolled: 1-line block ×3, first 2 shown]
	v_fma_f32 v15, -v1, v6, v16
	v_mul_f32_e32 v16, v16, v13
	v_mul_f32_e32 v11, v11, v6
	;; [unrolled: 1-line block ×5, first 2 shown]
	v_fma_f32 v13, v1, v13, -v20
	v_fmac_f32_e32 v16, v10, v17
	v_mul_f32_e32 v10, 4.0, v9
	v_fma_f32 v11, v1, v14, -v11
	v_div_scale_f32 v20, s[0:1], v18, v18, v23
	v_mul_f32_e32 v26, v1, v22
	v_mul_f32_e32 v13, v24, v13
	;; [unrolled: 1-line block ×4, first 2 shown]
	v_div_scale_f32 v24, s[0:1], v18, v18, v13
	v_div_scale_f32 v27, s[2:3], v18, v18, v11
	v_div_scale_f32 v25, vcc, v23, v18, v23
	v_mul_f32_e32 v17, v9, v22
	v_mul_f32_e32 v9, v9, v17
	;; [unrolled: 1-line block ×3, first 2 shown]
	v_sub_f32_e32 v19, v1, v6
	v_div_scale_f32 v29, s[4:5], v11, v18, v11
	v_mul_f32_e32 v17, v6, v17
	v_mul_f32_e32 v1, v1, v9
	v_fmac_f32_e32 v15, v6, v6
	v_mul_f32_e32 v17, v19, v17
	v_mul_f32_e32 v1, v6, v1
	v_rcp_f32_e32 v19, v20
	v_mul_f32_e32 v21, v18, v18
	v_mul_f32_e32 v1, v15, v1
	v_rcp_f32_e32 v15, v24
	v_div_scale_f32 v6, s[8:9], v21, v21, v17
	v_rcp_f32_e32 v30, v27
	v_fma_f32 v31, -v20, v19, 1.0
	v_mul_f32_e32 v22, 0x40c00000, v22
	v_fmac_f32_e32 v19, v31, v19
	v_fma_f32 v31, -v24, v15, 1.0
	v_div_scale_f32 v26, s[0:1], v13, v18, v13
	v_mul_f32_e32 v16, v22, v16
	v_mul_f32_e32 v32, v25, v19
	v_fmac_f32_e32 v15, v31, v15
	v_fma_f32 v31, -v27, v30, 1.0
	v_div_scale_f32 v9, s[8:9], v21, v21, v16
	v_fmac_f32_e32 v30, v31, v30
	v_fma_f32 v31, -v20, v32, v25
	v_fmac_f32_e32 v32, v31, v19
	v_div_scale_f32 v31, s[8:9], v17, v21, v17
	v_fma_f32 v20, -v20, v32, v25
	v_div_fmas_f32 v19, v20, v19, v32
	v_mul_f32_e32 v20, v29, v30
	v_fma_f32 v32, -v27, v20, v29
	v_fmac_f32_e32 v20, v32, v30
	v_fma_f32 v27, -v27, v20, v29
	v_rcp_f32_e32 v29, v6
	s_mov_b64 vcc, s[4:5]
	v_div_fmas_f32 v20, v27, v30, v20
	v_mul_f32_e32 v27, v26, v15
	v_fma_f32 v30, -v6, v29, 1.0
	v_fmac_f32_e32 v29, v30, v29
	v_fma_f32 v30, -v24, v27, v26
	v_mul_f32_e32 v14, v18, v21
	v_fmac_f32_e32 v27, v30, v15
	v_mul_f32_e32 v30, v31, v29
	v_div_scale_f32 v25, s[10:11], v14, v14, v1
	v_fma_f32 v24, -v24, v27, v26
	v_fma_f32 v26, -v6, v30, v31
	v_fmac_f32_e32 v30, v26, v29
	v_fma_f32 v6, -v6, v30, v31
	s_mov_b64 vcc, s[8:9]
	v_div_fmas_f32 v6, v6, v29, v30
	s_mov_b64 vcc, s[0:1]
	v_div_fmas_f32 v15, v24, v15, v27
	v_div_scale_f32 v32, s[10:11], v1, v14, v1
	v_div_scale_f32 v26, s[4:5], v16, v21, v16
	;; [unrolled: 1-line block ×4, first 2 shown]
	v_rcp_f32_e32 v31, v25
	v_rcp_f32_e32 v24, v9
	v_div_fixup_f32 v11, v20, v18, v11
	v_add_f32_e32 v7, v7, v11
	v_fma_f32 v27, -v25, v31, 1.0
	v_div_fixup_f32 v6, v6, v21, v17
	v_add_f32_e32 v6, v8, v6
	v_div_fixup_f32 v8, v15, v18, v13
	v_fmac_f32_e32 v31, v27, v31
	v_add_f32_e32 v8, v8, v6
	v_fma_f32 v6, -v9, v24, 1.0
	v_mul_f32_e32 v27, v32, v31
	v_fmac_f32_e32 v24, v6, v24
	v_fma_f32 v29, -v25, v27, v32
	v_mul_f32_e32 v6, v26, v24
	v_fmac_f32_e32 v27, v29, v31
	v_fma_f32 v11, -v9, v6, v26
	v_fma_f32 v25, -v25, v27, v32
	s_mov_b64 vcc, s[10:11]
	v_fmac_f32_e32 v6, v11, v24
	v_rcp_f32_e32 v11, v22
	v_div_fmas_f32 v25, v25, v31, v27
	v_fma_f32 v9, -v9, v6, v26
	s_mov_b64 vcc, s[4:5]
	v_div_fmas_f32 v6, v9, v24, v6
	v_fma_f32 v9, -v22, v11, 1.0
	v_fmac_f32_e32 v11, v9, v11
	v_mul_f32_e32 v9, v28, v11
	v_fma_f32 v13, -v22, v9, v28
	v_div_fixup_f32 v19, v19, v18, v23
	v_fmac_f32_e32 v9, v13, v11
	v_add_f32_e32 v4, v4, v19
	v_fma_f32 v13, -v22, v9, v28
	s_mov_b64 vcc, s[2:3]
	v_div_fmas_f32 v9, v13, v11, v9
	v_mov_b32_dpp v13, v4 quad_perm:[1,0,3,2] row_mask:0xf bank_mask:0xf bound_ctrl:1
	v_mov_b32_dpp v11, v18 quad_perm:[1,0,3,2] row_mask:0xf bank_mask:0xf bound_ctrl:1
	v_sub_f32_e32 v4, v4, v13
	v_add_f32_e32 v15, v18, v11
	v_mul_f32_e32 v17, v18, v4
	v_div_scale_f32 v19, s[0:1], v15, v15, v17
	v_div_fixup_f32 v1, v25, v14, v1
	v_add_f32_e32 v1, v12, v1
	v_mul_f32_e32 v12, v4, v4
	v_div_scale_f32 v14, vcc, v17, v15, v17
	v_mul_f32_e32 v20, v12, v11
	v_mul_f32_e32 v20, v18, v20
	v_div_scale_f32 v22, s[0:1], v15, v15, v20
	v_div_fixup_f32 v6, v6, v21, v16
	v_add_f32_e32 v1, v6, v1
	v_div_fixup_f32 v6, v9, v18, v10
	v_div_scale_f32 v9, s[0:1], v20, v15, v20
	v_rcp_f32_e32 v10, v19
	v_mul_f32_e32 v23, v4, v12
	v_mul_f32_e32 v16, v15, v15
	;; [unrolled: 1-line block ×3, first 2 shown]
	v_fma_f32 v24, -v19, v10, 1.0
	v_fmac_f32_e32 v10, v24, v10
	v_mul_f32_e32 v24, v14, v10
	v_fma_f32 v25, -v19, v24, v14
	v_fmac_f32_e32 v24, v25, v10
	v_rcp_f32_e32 v25, v22
	v_fma_f32 v14, -v19, v24, v14
	v_div_fmas_f32 v10, v14, v10, v24
	s_mov_b64 vcc, s[0:1]
	v_fma_f32 v14, -v22, v25, 1.0
	v_fmac_f32_e32 v25, v14, v25
	v_mul_f32_e32 v14, v9, v25
	v_fma_f32 v19, -v22, v14, v9
	v_fmac_f32_e32 v14, v19, v25
	v_fma_f32 v9, -v22, v14, v9
	v_div_fmas_f32 v9, v9, v25, v14
	v_mul_f32_e32 v19, v23, v11
	v_mul_f32_e32 v19, v18, v19
	v_sub_f32_e32 v22, v11, v18
	v_mul_f32_e32 v19, v22, v19
	v_div_scale_f32 v22, s[2:3], v16, v16, v19
	v_mov_b32_dpp v14, v2 quad_perm:[1,0,3,2] row_mask:0xf bank_mask:0xf bound_ctrl:1
	v_mov_b32_dpp v24, v3 quad_perm:[1,0,3,2] row_mask:0xf bank_mask:0xf bound_ctrl:1
	v_cmp_lt_f32_e32 vcc, v2, v14
	v_cndmask_b32_e32 v2, v14, v2, vcc
	v_cmp_gt_f32_e32 vcc, v3, v24
	v_mov_b32_dpp v25, v7 quad_perm:[1,0,3,2] row_mask:0xf bank_mask:0xf bound_ctrl:1
	v_cndmask_b32_e32 v3, v24, v3, vcc
	v_div_fixup_f32 v10, v10, v15, v17
	v_div_scale_f32 v17, vcc, v19, v16, v19
	v_mul_f32_e32 v24, v18, v25
	v_div_fixup_f32 v9, v9, v15, v20
	v_mul_f32_e32 v20, 0x40400000, v4
	v_fma_f32 v24, v7, v11, -v24
	v_mul_f32_e32 v20, v20, v24
	v_div_scale_f32 v24, s[0:1], v15, v15, v20
	v_mul_f32_e32 v23, v4, v23
	v_mul_f32_e32 v23, v23, v11
	v_fma_f32 v31, -v18, v11, v30
	v_add_f32_e32 v10, v10, v13
	v_rcp_f32_e32 v13, v22
	v_div_scale_f32 v29, s[0:1], v20, v15, v20
	v_mul_f32_e32 v23, v18, v23
	v_fmac_f32_e32 v31, v18, v18
	v_mul_f32_e32 v28, v15, v16
	v_mul_f32_e32 v23, v31, v23
	v_div_scale_f32 v31, s[2:3], v28, v28, v23
	v_add_f32_e32 v14, v7, v25
	v_add_f32_e32 v9, v14, v9
	v_fma_f32 v14, -v22, v13, 1.0
	v_fmac_f32_e32 v13, v14, v13
	v_mul_f32_e32 v14, v17, v13
	v_fma_f32 v32, -v22, v14, v17
	v_fmac_f32_e32 v14, v32, v13
	v_div_scale_f32 v32, s[2:3], v23, v28, v23
	v_rcp_f32_e32 v33, v24
	v_fma_f32 v17, -v22, v14, v17
	v_div_fmas_f32 v13, v17, v13, v14
	s_mov_b64 vcc, s[0:1]
	v_fma_f32 v14, -v24, v33, 1.0
	v_fmac_f32_e32 v33, v14, v33
	v_mul_f32_e32 v14, v29, v33
	v_fma_f32 v17, -v24, v14, v29
	v_fmac_f32_e32 v14, v17, v33
	v_rcp_f32_e32 v17, v31
	v_fma_f32 v22, -v24, v14, v29
	v_mul_f32_e32 v21, v21, v25
	v_div_fmas_f32 v14, v22, v33, v14
	v_fma_f32 v22, -v31, v17, 1.0
	v_mul_f32_e32 v12, 0x40c00000, v12
	v_fmac_f32_e32 v21, v7, v30
	v_fmac_f32_e32 v17, v22, v17
	v_mul_f32_e32 v7, v12, v21
	v_mul_f32_e32 v22, v32, v17
	v_div_scale_f32 v12, s[0:1], v16, v16, v7
	v_fma_f32 v24, -v31, v22, v32
	v_fmac_f32_e32 v22, v24, v17
	v_fma_f32 v24, -v31, v22, v32
	s_mov_b64 vcc, s[2:3]
	v_mov_b32_dpp v26, v8 quad_perm:[1,0,3,2] row_mask:0xf bank_mask:0xf bound_ctrl:1
	v_div_fmas_f32 v17, v24, v17, v22
	v_mul_f32_e32 v18, v18, v26
	v_div_scale_f32 v21, vcc, v7, v16, v7
	v_mul_f32_e32 v4, 4.0, v4
	v_fma_f32 v11, v8, v11, -v18
	v_mul_f32_e32 v4, v4, v11
	v_div_scale_f32 v11, s[0:1], v15, v15, v4
	v_add_f32_e32 v8, v8, v26
	v_div_fixup_f32 v13, v13, v16, v19
	v_add_f32_e32 v8, v8, v13
	v_div_fixup_f32 v13, v14, v15, v20
	v_div_scale_f32 v14, s[0:1], v4, v15, v4
	v_rcp_f32_e32 v18, v12
	v_add_f32_e32 v8, v13, v8
	v_div_fixup_f32 v13, v17, v28, v23
	v_add_f32_e32 v1, v6, v1
	v_fma_f32 v17, -v12, v18, 1.0
	v_fmac_f32_e32 v18, v17, v18
	v_mul_f32_e32 v17, v21, v18
	v_fma_f32 v19, -v12, v17, v21
	v_fmac_f32_e32 v17, v19, v18
	v_rcp_f32_e32 v19, v11
	v_fma_f32 v12, -v12, v17, v21
	v_div_fmas_f32 v12, v12, v18, v17
	s_mov_b64 vcc, s[0:1]
	v_fma_f32 v17, -v11, v19, 1.0
	v_fmac_f32_e32 v19, v17, v19
	v_mul_f32_e32 v17, v14, v19
	v_fma_f32 v18, -v11, v17, v14
	v_fmac_f32_e32 v17, v18, v19
	v_fma_f32 v11, -v11, v17, v14
	v_div_fmas_f32 v11, v11, v19, v17
	v_mov_b32_dpp v17, v10 quad_perm:[2,3,0,1] row_mask:0xf bank_mask:0xf bound_ctrl:1
	v_mov_b32_dpp v14, v15 quad_perm:[2,3,0,1] row_mask:0xf bank_mask:0xf bound_ctrl:1
	v_sub_f32_e32 v10, v10, v17
	v_add_f32_e32 v18, v15, v14
	v_mul_f32_e32 v19, v15, v10
	v_div_scale_f32 v20, s[0:1], v18, v18, v19
	v_mov_b32_dpp v27, v1 quad_perm:[1,0,3,2] row_mask:0xf bank_mask:0xf bound_ctrl:1
	v_add_f32_e32 v1, v1, v27
	v_div_fixup_f32 v7, v12, v16, v7
	v_mul_f32_e32 v12, v10, v10
	v_add_f32_e32 v1, v1, v13
	v_div_scale_f32 v13, vcc, v19, v18, v19
	v_mul_f32_e32 v21, v12, v14
	v_mul_f32_e32 v21, v15, v21
	v_div_scale_f32 v22, s[0:1], v18, v18, v21
	v_add_f32_e32 v1, v7, v1
	v_div_scale_f32 v7, s[0:1], v21, v18, v21
	v_div_fixup_f32 v4, v11, v15, v4
	v_rcp_f32_e32 v11, v20
	v_mul_f32_e32 v25, v10, v12
	v_mul_f32_e32 v24, v18, v18
	v_add_f32_e32 v1, v4, v1
	v_fma_f32 v26, -v20, v11, 1.0
	v_fmac_f32_e32 v11, v26, v11
	v_mul_f32_e32 v26, v13, v11
	v_fma_f32 v27, -v20, v26, v13
	v_fmac_f32_e32 v26, v27, v11
	v_fma_f32 v13, -v20, v26, v13
	v_rcp_f32_e32 v27, v22
	v_div_fmas_f32 v11, v13, v11, v26
	s_mov_b64 vcc, s[0:1]
	v_mov_b32_dpp v4, v2 quad_perm:[2,3,0,1] row_mask:0xf bank_mask:0xf bound_ctrl:1
	v_fma_f32 v13, -v22, v27, 1.0
	v_fmac_f32_e32 v27, v13, v27
	v_mul_f32_e32 v13, v7, v27
	v_fma_f32 v20, -v22, v13, v7
	v_fmac_f32_e32 v13, v20, v27
	v_fma_f32 v7, -v22, v13, v7
	v_div_fmas_f32 v7, v7, v27, v13
	v_mul_f32_e32 v13, v25, v14
	v_mul_f32_e32 v13, v15, v13
	v_sub_f32_e32 v20, v14, v15
	v_mul_f32_e32 v13, v20, v13
	v_div_scale_f32 v20, s[0:1], v24, v24, v13
	v_mov_b32_dpp v23, v3 quad_perm:[2,3,0,1] row_mask:0xf bank_mask:0xf bound_ctrl:1
	v_cmp_lt_f32_e32 vcc, v2, v4
	v_mov_b32_dpp v22, v9 quad_perm:[2,3,0,1] row_mask:0xf bank_mask:0xf bound_ctrl:1
	v_cndmask_b32_e32 v2, v4, v2, vcc
	v_cmp_gt_f32_e32 vcc, v3, v23
	v_cndmask_b32_e32 v3, v23, v3, vcc
	v_mul_f32_e32 v23, v15, v22
	v_div_fixup_f32 v4, v11, v18, v19
	v_div_scale_f32 v19, vcc, v13, v24, v13
	v_div_fixup_f32 v7, v7, v18, v21
	v_mul_f32_e32 v21, 0x40400000, v10
	v_fma_f32 v23, v9, v14, -v23
	v_mul_f32_e32 v21, v21, v23
	v_div_scale_f32 v23, s[0:1], v18, v18, v21
	v_div_scale_f32 v29, s[0:1], v21, v18, v21
	v_mul_f32_e32 v25, v10, v25
	v_add_f32_e32 v4, v4, v17
	v_rcp_f32_e32 v17, v20
	v_mul_f32_e32 v30, v14, v14
	v_mul_f32_e32 v25, v25, v14
	v_fma_f32 v31, -v15, v14, v30
	v_mul_f32_e32 v25, v15, v25
	v_fmac_f32_e32 v31, v15, v15
	v_mul_f32_e32 v28, v18, v24
	v_mul_f32_e32 v25, v31, v25
	v_div_scale_f32 v31, s[2:3], v28, v28, v25
	v_fma_f32 v32, -v20, v17, 1.0
	v_fmac_f32_e32 v17, v32, v17
	v_mul_f32_e32 v32, v19, v17
	v_fma_f32 v33, -v20, v32, v19
	v_fmac_f32_e32 v32, v33, v17
	v_rcp_f32_e32 v33, v23
	v_fma_f32 v19, -v20, v32, v19
	v_div_fmas_f32 v17, v19, v17, v32
	v_mul_f32_e32 v16, v16, v22
	v_fma_f32 v19, -v23, v33, 1.0
	v_fmac_f32_e32 v33, v19, v33
	v_mul_f32_e32 v19, v29, v33
	v_fma_f32 v20, -v23, v19, v29
	v_fmac_f32_e32 v19, v20, v33
	v_fma_f32 v20, -v23, v19, v29
	v_div_scale_f32 v29, s[2:3], v25, v28, v25
	v_mul_f32_e32 v12, 0x40c00000, v12
	v_fmac_f32_e32 v16, v30, v9
	v_add_f32_e32 v11, v9, v22
	v_mul_f32_e32 v9, v12, v16
	v_div_scale_f32 v12, s[4:5], v24, v24, v9
	v_rcp_f32_e32 v23, v31
	s_mov_b64 vcc, s[0:1]
	v_div_fmas_f32 v16, v20, v33, v19
	v_mov_b32_dpp v26, v8 quad_perm:[2,3,0,1] row_mask:0xf bank_mask:0xf bound_ctrl:1
	v_fma_f32 v19, -v31, v23, 1.0
	v_fmac_f32_e32 v23, v19, v23
	v_div_scale_f32 v19, s[0:1], v9, v24, v9
	v_mul_f32_e32 v15, v15, v26
	v_add_f32_e32 v7, v11, v7
	v_add_f32_e32 v11, v8, v26
	v_fma_f32 v8, v8, v14, -v15
	v_mul_f32_e32 v14, v29, v23
	v_mul_f32_e32 v10, 4.0, v10
	v_fma_f32 v15, -v31, v14, v29
	v_mul_f32_e32 v8, v10, v8
	v_fmac_f32_e32 v14, v15, v23
	v_rcp_f32_e32 v15, v12
	v_div_scale_f32 v10, s[4:5], v18, v18, v8
	v_fma_f32 v22, -v31, v14, v29
	s_mov_b64 vcc, s[2:3]
	v_div_fmas_f32 v14, v22, v23, v14
	v_fma_f32 v22, -v12, v15, 1.0
	v_fmac_f32_e32 v15, v22, v15
	v_mul_f32_e32 v22, v19, v15
	v_div_scale_f32 v20, s[4:5], v8, v18, v8
	v_fma_f32 v23, -v12, v22, v19
	v_fmac_f32_e32 v22, v23, v15
	v_fma_f32 v12, -v12, v22, v19
	s_mov_b64 vcc, s[0:1]
	v_div_fmas_f32 v12, v12, v15, v22
	v_div_fixup_f32 v13, v17, v24, v13
	v_rcp_f32_e32 v19, v10
	v_mov_b32_dpp v27, v1 quad_perm:[2,3,0,1] row_mask:0xf bank_mask:0xf bound_ctrl:1
	v_add_f32_e32 v11, v11, v13
	v_div_fixup_f32 v13, v16, v18, v21
	v_fma_f32 v15, -v10, v19, 1.0
	v_fmac_f32_e32 v19, v15, v19
	v_add_f32_e32 v11, v13, v11
	v_add_f32_e32 v1, v1, v27
	v_mul_f32_e32 v15, v20, v19
	v_fma_f32 v17, -v10, v15, v20
	v_div_fixup_f32 v13, v14, v28, v25
	v_fmac_f32_e32 v15, v17, v19
	v_add_f32_e32 v1, v1, v13
	v_mov_b32_dpp v13, v4 row_ror:4 row_mask:0xf bank_mask:0xf bound_ctrl:1
	v_fma_f32 v10, -v10, v15, v20
	s_mov_b64 vcc, s[4:5]
	v_div_fixup_f32 v9, v12, v24, v9
	v_mov_b32_dpp v12, v18 row_ror:4 row_mask:0xf bank_mask:0xf bound_ctrl:1
	v_sub_f32_e32 v4, v4, v13
	v_div_fmas_f32 v10, v10, v19, v15
	v_add_f32_e32 v14, v18, v12
	v_mul_f32_e32 v15, v18, v4
	v_div_scale_f32 v16, s[0:1], v14, v14, v15
	v_add_f32_e32 v1, v9, v1
	v_div_scale_f32 v9, vcc, v15, v14, v15
	v_mul_f32_e32 v17, v4, v4
	v_mul_f32_e32 v19, v17, v12
	;; [unrolled: 1-line block ×3, first 2 shown]
	v_div_scale_f32 v20, s[0:1], v14, v14, v19
	v_mul_f32_e32 v27, v4, v17
	v_mul_f32_e32 v28, v4, v27
	v_mul_f32_e32 v27, v27, v12
	v_mul_f32_e32 v27, v18, v27
	v_mul_f32_e32 v23, v14, v14
	v_mov_b32_dpp v21, v7 row_ror:4 row_mask:0xf bank_mask:0xf bound_ctrl:1
	v_rcp_f32_e32 v25, v16
	v_mul_f32_e32 v33, v18, v21
	v_mul_f32_e32 v32, 0x40400000, v4
	v_fma_f32 v33, v7, v12, -v33
	v_fma_f32 v29, -v16, v25, 1.0
	v_fmac_f32_e32 v25, v29, v25
	v_mul_f32_e32 v29, v9, v25
	v_fma_f32 v30, -v16, v29, v9
	v_fmac_f32_e32 v29, v30, v25
	v_fma_f32 v9, -v16, v29, v9
	v_div_fmas_f32 v9, v9, v25, v29
	v_div_scale_f32 v25, vcc, v19, v14, v19
	v_sub_f32_e32 v29, v12, v18
	v_mul_f32_e32 v27, v29, v27
	v_div_scale_f32 v29, s[0:1], v23, v23, v27
	v_rcp_f32_e32 v16, v20
	v_div_scale_f32 v31, s[0:1], v27, v23, v27
	v_mul_f32_e32 v32, v32, v33
	v_div_scale_f32 v33, s[2:3], v14, v14, v32
	v_fma_f32 v30, -v20, v16, 1.0
	v_fmac_f32_e32 v16, v30, v16
	v_mul_f32_e32 v28, v28, v12
	v_mul_f32_e32 v28, v18, v28
	;; [unrolled: 1-line block ×3, first 2 shown]
	v_fma_f32 v34, -v20, v30, v25
	v_fmac_f32_e32 v30, v34, v16
	v_div_scale_f32 v34, s[2:3], v32, v14, v32
	v_rcp_f32_e32 v35, v29
	v_fma_f32 v20, -v20, v30, v25
	v_div_fmas_f32 v16, v20, v16, v30
	s_mov_b64 vcc, s[0:1]
	v_fma_f32 v20, -v29, v35, 1.0
	v_fmac_f32_e32 v35, v20, v35
	v_mul_f32_e32 v20, v31, v35
	v_fma_f32 v25, -v29, v20, v31
	v_fmac_f32_e32 v20, v25, v35
	v_rcp_f32_e32 v25, v33
	v_fma_f32 v29, -v29, v20, v31
	v_div_fmas_f32 v20, v29, v35, v20
	s_mov_b64 vcc, s[2:3]
	v_fma_f32 v29, -v33, v25, 1.0
	v_fmac_f32_e32 v25, v29, v25
	v_mul_f32_e32 v29, v34, v25
	v_fma_f32 v30, -v33, v29, v34
	v_fmac_f32_e32 v29, v30, v25
	v_fma_f32 v30, -v33, v29, v34
	v_div_fmas_f32 v25, v30, v25, v29
	v_mul_f32_e32 v29, v12, v12
	v_fma_f32 v30, -v18, v12, v29
	v_fmac_f32_e32 v30, v18, v18
	v_mul_f32_e32 v26, v14, v23
	v_mul_f32_e32 v28, v30, v28
	v_div_scale_f32 v30, s[0:1], v26, v26, v28
	v_div_fixup_f32 v8, v10, v18, v8
	v_add_f32_e32 v1, v8, v1
	v_mov_b32_dpp v10, v3 row_ror:4 row_mask:0xf bank_mask:0xf bound_ctrl:1
	v_mov_b32_dpp v8, v2 row_ror:4 row_mask:0xf bank_mask:0xf bound_ctrl:1
	v_cmp_lt_f32_e32 vcc, v2, v8
	v_cndmask_b32_e32 v2, v8, v2, vcc
	v_cmp_gt_f32_e32 vcc, v3, v10
	v_cndmask_b32_e32 v3, v10, v3, vcc
	v_div_fixup_f32 v8, v9, v14, v15
	v_div_scale_f32 v15, vcc, v28, v26, v28
	v_div_fixup_f32 v10, v16, v14, v19
	v_mul_f32_e32 v16, 0x40c00000, v17
	v_mul_f32_e32 v17, v24, v21
	v_fmac_f32_e32 v17, v29, v7
	v_add_f32_e32 v9, v7, v21
	v_mul_f32_e32 v7, v16, v17
	v_div_scale_f32 v16, s[0:1], v23, v23, v7
	v_mov_b32_dpp v22, v11 row_ror:4 row_mask:0xf bank_mask:0xf bound_ctrl:1
	v_add_f32_e32 v8, v8, v13
	v_add_f32_e32 v9, v9, v10
	;; [unrolled: 1-line block ×3, first 2 shown]
	v_div_fixup_f32 v13, v20, v23, v27
	v_add_f32_e32 v10, v10, v13
	v_div_fixup_f32 v13, v25, v14, v32
	v_mul_f32_e32 v18, v18, v22
	v_add_f32_e32 v10, v13, v10
	v_rcp_f32_e32 v13, v30
	v_div_scale_f32 v19, s[0:1], v7, v23, v7
	v_mul_f32_e32 v4, 4.0, v4
	v_fma_f32 v11, v11, v12, -v18
	v_mul_f32_e32 v4, v4, v11
	v_div_scale_f32 v11, s[2:3], v14, v14, v4
	v_fma_f32 v17, -v30, v13, 1.0
	v_fmac_f32_e32 v13, v17, v13
	v_mul_f32_e32 v12, v15, v13
	v_fma_f32 v17, -v30, v12, v15
	v_fmac_f32_e32 v12, v17, v13
	v_div_scale_f32 v17, s[2:3], v4, v14, v4
	v_rcp_f32_e32 v18, v16
	v_fma_f32 v15, -v30, v12, v15
	v_div_fmas_f32 v12, v15, v13, v12
	s_mov_b64 vcc, s[0:1]
	v_fma_f32 v13, -v16, v18, 1.0
	v_fmac_f32_e32 v18, v13, v18
	v_mul_f32_e32 v13, v19, v18
	v_fma_f32 v15, -v16, v13, v19
	v_fmac_f32_e32 v13, v15, v18
	v_rcp_f32_e32 v15, v11
	v_fma_f32 v16, -v16, v13, v19
	v_div_fmas_f32 v13, v16, v18, v13
	s_mov_b64 vcc, s[2:3]
	v_fma_f32 v16, -v11, v15, 1.0
	v_fmac_f32_e32 v15, v16, v15
	v_mul_f32_e32 v16, v17, v15
	v_fma_f32 v18, -v11, v16, v17
	v_fmac_f32_e32 v16, v18, v15
	v_fma_f32 v11, -v11, v16, v17
	v_div_fmas_f32 v11, v11, v15, v16
	v_mov_b32_dpp v16, v8 row_ror:8 row_mask:0xf bank_mask:0xf bound_ctrl:1
	v_mov_b32_dpp v15, v14 row_ror:8 row_mask:0xf bank_mask:0xf bound_ctrl:1
	v_sub_f32_e32 v8, v8, v16
	v_add_f32_e32 v17, v14, v15
	v_mul_f32_e32 v18, v14, v8
	v_div_scale_f32 v19, s[0:1], v17, v17, v18
	v_mul_f32_e32 v20, v8, v8
	v_div_scale_f32 v21, vcc, v18, v17, v18
	v_mul_f32_e32 v22, v20, v15
	v_mul_f32_e32 v22, v14, v22
	v_div_scale_f32 v24, s[0:1], v17, v17, v22
	v_mov_b32_dpp v31, v1 row_ror:4 row_mask:0xf bank_mask:0xf bound_ctrl:1
	v_add_f32_e32 v1, v1, v31
	v_div_fixup_f32 v12, v12, v26, v28
	v_add_f32_e32 v1, v1, v12
	v_div_fixup_f32 v7, v13, v23, v7
	v_add_f32_e32 v1, v7, v1
	v_div_scale_f32 v7, s[0:1], v22, v17, v22
	v_div_fixup_f32 v4, v11, v14, v4
	v_rcp_f32_e32 v11, v19
	v_mul_f32_e32 v12, v8, v20
	v_add_f32_e32 v1, v4, v1
	v_mul_f32_e32 v4, v17, v17
	v_fma_f32 v13, -v19, v11, 1.0
	v_fmac_f32_e32 v11, v13, v11
	v_mul_f32_e32 v13, v21, v11
	v_fma_f32 v25, -v19, v13, v21
	v_fmac_f32_e32 v13, v25, v11
	v_rcp_f32_e32 v25, v24
	v_fma_f32 v19, -v19, v13, v21
	v_div_fmas_f32 v11, v19, v11, v13
	s_mov_b64 vcc, s[0:1]
	v_fma_f32 v13, -v24, v25, 1.0
	v_fmac_f32_e32 v25, v13, v25
	v_mul_f32_e32 v13, v7, v25
	v_fma_f32 v19, -v24, v13, v7
	v_fmac_f32_e32 v13, v19, v25
	v_fma_f32 v7, -v24, v13, v7
	v_div_fmas_f32 v7, v7, v25, v13
	v_mul_f32_e32 v19, v12, v15
	v_mul_f32_e32 v19, v14, v19
	v_sub_f32_e32 v21, v15, v14
	v_mul_f32_e32 v19, v21, v19
	v_div_scale_f32 v21, s[2:3], v4, v4, v19
	v_mov_b32_dpp v13, v2 row_ror:8 row_mask:0xf bank_mask:0xf bound_ctrl:1
	v_mov_b32_dpp v24, v3 row_ror:8 row_mask:0xf bank_mask:0xf bound_ctrl:1
	v_cmp_lt_f32_e32 vcc, v2, v13
	v_cndmask_b32_e32 v2, v13, v2, vcc
	v_cmp_gt_f32_e32 vcc, v3, v24
	v_mov_b32_dpp v25, v9 row_ror:8 row_mask:0xf bank_mask:0xf bound_ctrl:1
	v_cndmask_b32_e32 v3, v24, v3, vcc
	v_div_fixup_f32 v11, v11, v17, v18
	v_div_scale_f32 v18, vcc, v19, v4, v19
	v_mul_f32_e32 v24, v14, v25
	v_div_fixup_f32 v7, v7, v17, v22
	v_mul_f32_e32 v22, 0x40400000, v8
	v_fma_f32 v24, v9, v15, -v24
	v_mul_f32_e32 v22, v22, v24
	v_div_scale_f32 v24, s[0:1], v17, v17, v22
	v_mul_f32_e32 v12, v8, v12
	v_mul_f32_e32 v30, v15, v15
	;; [unrolled: 1-line block ×3, first 2 shown]
	v_fma_f32 v31, -v14, v15, v30
	v_rcp_f32_e32 v13, v21
	v_div_scale_f32 v29, s[0:1], v22, v17, v22
	v_mul_f32_e32 v12, v14, v12
	v_fmac_f32_e32 v31, v14, v14
	v_mul_f32_e32 v28, v17, v4
	v_mul_f32_e32 v12, v31, v12
	v_div_scale_f32 v31, s[2:3], v28, v28, v12
	v_add_f32_e32 v11, v11, v16
	v_add_f32_e32 v16, v9, v25
	;; [unrolled: 1-line block ×3, first 2 shown]
	v_fma_f32 v16, -v21, v13, 1.0
	v_fmac_f32_e32 v13, v16, v13
	v_mul_f32_e32 v16, v18, v13
	v_fma_f32 v32, -v21, v16, v18
	v_fmac_f32_e32 v16, v32, v13
	v_div_scale_f32 v32, s[2:3], v12, v28, v12
	v_rcp_f32_e32 v33, v24
	v_fma_f32 v18, -v21, v16, v18
	v_div_fmas_f32 v13, v18, v13, v16
	v_mul_f32_e32 v23, v23, v25
	v_fma_f32 v16, -v24, v33, 1.0
	v_fmac_f32_e32 v33, v16, v33
	v_mul_f32_e32 v16, v29, v33
	v_fma_f32 v18, -v24, v16, v29
	v_fmac_f32_e32 v16, v18, v33
	v_rcp_f32_e32 v18, v31
	v_mul_f32_e32 v20, 0x40c00000, v20
	v_fmac_f32_e32 v23, v30, v9
	v_fma_f32 v21, -v24, v16, v29
	s_mov_b64 vcc, s[0:1]
	v_mul_f32_e32 v9, v20, v23
	v_div_fmas_f32 v16, v21, v33, v16
	v_fma_f32 v21, -v31, v18, 1.0
	v_div_scale_f32 v20, s[0:1], v4, v4, v9
	v_fmac_f32_e32 v18, v21, v18
	v_mul_f32_e32 v21, v32, v18
	v_fma_f32 v24, -v31, v21, v32
	v_mov_b32_dpp v26, v10 row_ror:8 row_mask:0xf bank_mask:0xf bound_ctrl:1
	v_fmac_f32_e32 v21, v24, v18
	v_fma_f32 v24, -v31, v21, v32
	s_mov_b64 vcc, s[2:3]
	v_mul_f32_e32 v14, v14, v26
	v_div_fmas_f32 v18, v24, v18, v21
	v_div_scale_f32 v21, vcc, v9, v4, v9
	v_mul_f32_e32 v8, 4.0, v8
	v_fma_f32 v14, v10, v15, -v14
	v_mul_f32_e32 v8, v8, v14
	v_div_scale_f32 v14, s[0:1], v17, v17, v8
	v_div_scale_f32 v15, s[0:1], v8, v17, v8
	v_add_f32_e32 v10, v10, v26
	v_div_fixup_f32 v13, v13, v4, v19
	v_add_f32_e32 v10, v10, v13
	v_div_fixup_f32 v13, v16, v17, v22
	v_rcp_f32_e32 v16, v20
	v_add_f32_e32 v10, v13, v10
	v_div_fixup_f32 v12, v18, v28, v12
	v_mov_b32_dpp v27, v1 row_ror:8 row_mask:0xf bank_mask:0xf bound_ctrl:1
	v_fma_f32 v13, -v20, v16, 1.0
	v_fmac_f32_e32 v16, v13, v16
	v_mul_f32_e32 v13, v21, v16
	v_fma_f32 v18, -v20, v13, v21
	v_fmac_f32_e32 v13, v18, v16
	v_rcp_f32_e32 v18, v14
	v_fma_f32 v19, -v20, v13, v21
	v_div_fmas_f32 v13, v19, v16, v13
	s_mov_b64 vcc, s[0:1]
	v_fma_f32 v16, -v14, v18, 1.0
	v_fmac_f32_e32 v18, v16, v18
	v_mul_f32_e32 v16, v15, v18
	v_fma_f32 v19, -v14, v16, v15
	v_fmac_f32_e32 v16, v19, v18
	v_fma_f32 v14, -v14, v16, v15
	v_div_fmas_f32 v14, v14, v18, v16
	v_mov_b32_dpp v16, v11 row_bcast:15 row_mask:0xf bank_mask:0xf bound_ctrl:1
	v_mov_b32_dpp v15, v17 row_bcast:15 row_mask:0xf bank_mask:0xf bound_ctrl:1
	v_sub_f32_e32 v11, v11, v16
	v_add_f32_e32 v18, v17, v15
	v_mul_f32_e32 v19, v17, v11
	v_div_scale_f32 v20, s[0:1], v18, v18, v19
	v_add_f32_e32 v1, v1, v27
	v_add_f32_e32 v1, v1, v12
	v_mul_f32_e32 v12, v11, v11
	v_div_fixup_f32 v9, v13, v4, v9
	v_div_scale_f32 v13, vcc, v19, v18, v19
	v_mul_f32_e32 v21, v12, v15
	v_mul_f32_e32 v21, v17, v21
	v_div_scale_f32 v22, s[0:1], v18, v18, v21
	v_add_f32_e32 v1, v9, v1
	v_div_scale_f32 v9, s[0:1], v21, v18, v21
	v_div_fixup_f32 v8, v14, v17, v8
	v_rcp_f32_e32 v14, v20
	v_mul_f32_e32 v25, v11, v12
	v_mul_f32_e32 v24, v18, v18
	v_add_f32_e32 v1, v8, v1
	v_fma_f32 v26, -v20, v14, 1.0
	v_fmac_f32_e32 v14, v26, v14
	v_mul_f32_e32 v26, v13, v14
	v_fma_f32 v27, -v20, v26, v13
	v_fmac_f32_e32 v26, v27, v14
	v_fma_f32 v13, -v20, v26, v13
	v_rcp_f32_e32 v27, v22
	v_div_fmas_f32 v13, v13, v14, v26
	s_mov_b64 vcc, s[0:1]
	v_mov_b32_dpp v8, v2 row_bcast:15 row_mask:0xf bank_mask:0xf bound_ctrl:1
	v_fma_f32 v14, -v22, v27, 1.0
	v_fmac_f32_e32 v27, v14, v27
	v_mul_f32_e32 v14, v9, v27
	v_fma_f32 v20, -v22, v14, v9
	v_fmac_f32_e32 v14, v20, v27
	v_fma_f32 v9, -v22, v14, v9
	v_div_fmas_f32 v9, v9, v27, v14
	v_mul_f32_e32 v14, v25, v15
	v_mul_f32_e32 v14, v17, v14
	v_sub_f32_e32 v20, v15, v17
	v_mul_f32_e32 v14, v20, v14
	v_div_scale_f32 v20, s[0:1], v24, v24, v14
	v_mov_b32_dpp v23, v3 row_bcast:15 row_mask:0xf bank_mask:0xf bound_ctrl:1
	v_cmp_lt_f32_e32 vcc, v2, v8
	v_mov_b32_dpp v22, v7 row_bcast:15 row_mask:0xf bank_mask:0xf bound_ctrl:1
	v_cndmask_b32_e32 v2, v8, v2, vcc
	v_cmp_gt_f32_e32 vcc, v3, v23
	v_cndmask_b32_e32 v3, v23, v3, vcc
	v_mul_f32_e32 v23, v17, v22
	v_div_fixup_f32 v8, v13, v18, v19
	v_div_scale_f32 v19, vcc, v14, v24, v14
	v_div_fixup_f32 v9, v9, v18, v21
	v_mul_f32_e32 v21, 0x40400000, v11
	v_fma_f32 v23, v7, v15, -v23
	v_mul_f32_e32 v21, v21, v23
	v_div_scale_f32 v23, s[0:1], v18, v18, v21
	v_div_scale_f32 v29, s[0:1], v21, v18, v21
	v_mul_f32_e32 v25, v11, v25
	v_add_f32_e32 v8, v8, v16
	v_rcp_f32_e32 v16, v20
	v_mul_f32_e32 v30, v15, v15
	v_mul_f32_e32 v25, v25, v15
	v_fma_f32 v31, -v17, v15, v30
	v_mul_f32_e32 v25, v17, v25
	v_fmac_f32_e32 v31, v17, v17
	v_mul_f32_e32 v28, v18, v24
	v_mul_f32_e32 v25, v31, v25
	v_div_scale_f32 v31, s[2:3], v28, v28, v25
	v_fma_f32 v32, -v20, v16, 1.0
	v_fmac_f32_e32 v16, v32, v16
	v_mul_f32_e32 v32, v19, v16
	v_fma_f32 v33, -v20, v32, v19
	v_fmac_f32_e32 v32, v33, v16
	v_rcp_f32_e32 v33, v23
	v_fma_f32 v19, -v20, v32, v19
	v_div_fmas_f32 v16, v19, v16, v32
	v_mul_f32_e32 v4, v4, v22
	v_fma_f32 v19, -v23, v33, 1.0
	v_fmac_f32_e32 v33, v19, v33
	v_mul_f32_e32 v19, v29, v33
	v_fma_f32 v20, -v23, v19, v29
	v_fmac_f32_e32 v19, v20, v33
	v_fma_f32 v20, -v23, v19, v29
	v_div_scale_f32 v29, s[2:3], v25, v28, v25
	v_mul_f32_e32 v12, 0x40c00000, v12
	v_fmac_f32_e32 v4, v30, v7
	v_mul_f32_e32 v4, v12, v4
	v_add_f32_e32 v13, v7, v22
	v_div_scale_f32 v7, s[4:5], v24, v24, v4
	v_rcp_f32_e32 v23, v31
	s_mov_b64 vcc, s[0:1]
	v_div_fmas_f32 v12, v20, v33, v19
	v_mov_b32_dpp v26, v10 row_bcast:15 row_mask:0xf bank_mask:0xf bound_ctrl:1
	v_fma_f32 v19, -v31, v23, 1.0
	v_fmac_f32_e32 v23, v19, v23
	v_div_scale_f32 v19, s[0:1], v4, v24, v4
	v_mul_f32_e32 v17, v17, v26
	v_add_f32_e32 v9, v13, v9
	v_add_f32_e32 v13, v10, v26
	v_mul_f32_e32 v11, 4.0, v11
	v_fma_f32 v10, v10, v15, -v17
	v_mul_f32_e32 v10, v11, v10
	v_div_scale_f32 v11, s[4:5], v18, v18, v10
	v_mul_f32_e32 v15, v29, v23
	v_fma_f32 v17, -v31, v15, v29
	v_fmac_f32_e32 v15, v17, v23
	v_rcp_f32_e32 v17, v7
	v_div_scale_f32 v20, s[4:5], v10, v18, v10
	v_fma_f32 v22, -v31, v15, v29
	s_mov_b64 vcc, s[2:3]
	v_div_fmas_f32 v15, v22, v23, v15
	v_fma_f32 v22, -v7, v17, 1.0
	v_fmac_f32_e32 v17, v22, v17
	v_mul_f32_e32 v22, v19, v17
	v_fma_f32 v23, -v7, v22, v19
	v_fmac_f32_e32 v22, v23, v17
	v_fma_f32 v7, -v7, v22, v19
	s_mov_b64 vcc, s[0:1]
	v_div_fmas_f32 v7, v7, v17, v22
	v_rcp_f32_e32 v19, v11
	v_div_fixup_f32 v14, v16, v24, v14
	s_mov_b64 vcc, s[4:5]
	v_mov_b32_dpp v27, v1 row_bcast:15 row_mask:0xf bank_mask:0xf bound_ctrl:1
	v_fma_f32 v16, -v11, v19, 1.0
	v_fmac_f32_e32 v19, v16, v19
	v_mul_f32_e32 v16, v20, v19
	v_fma_f32 v17, -v11, v16, v20
	v_fmac_f32_e32 v16, v17, v19
	v_fma_f32 v11, -v11, v16, v20
	v_div_fmas_f32 v11, v11, v19, v16
	v_add_f32_e32 v13, v13, v14
	v_div_fixup_f32 v12, v12, v18, v21
	v_add_f32_e32 v12, v12, v13
	v_add_f32_e32 v1, v1, v27
	v_div_fixup_f32 v13, v15, v28, v25
	v_add_f32_e32 v1, v1, v13
	v_div_fixup_f32 v4, v7, v24, v4
	v_mov_b32_dpp v13, v8 row_bcast:31 row_mask:0xf bank_mask:0xf bound_ctrl:1
	v_mov_b32_dpp v7, v18 row_bcast:31 row_mask:0xf bank_mask:0xf bound_ctrl:1
	v_sub_f32_e32 v8, v8, v13
	v_add_f32_e32 v14, v18, v7
	v_mul_f32_e32 v15, v18, v8
	v_div_scale_f32 v16, s[0:1], v14, v14, v15
	v_add_f32_e32 v1, v4, v1
	v_div_fixup_f32 v4, v11, v18, v10
	v_add_f32_e32 v1, v4, v1
	v_mul_f32_e32 v22, v8, v8
	v_mov_b32_dpp v4, v2 row_bcast:31 row_mask:0xf bank_mask:0xf bound_ctrl:1
	v_cmp_lt_f32_e32 vcc, v2, v4
	v_cndmask_b32_e32 v2, v4, v2, vcc
	v_div_scale_f32 v26, vcc, v15, v14, v15
	v_mul_f32_e32 v27, v22, v7
	v_mul_f32_e32 v27, v18, v27
	v_div_scale_f32 v28, s[0:1], v14, v14, v27
	v_mov_b32_dpp v10, v3 row_bcast:31 row_mask:0xf bank_mask:0xf bound_ctrl:1
	v_rcp_f32_e32 v4, v16
	v_cmp_gt_f32_e64 s[0:1], v3, v10
	v_cndmask_b32_e64 v3, v10, v3, s[0:1]
	v_mul_f32_e32 v23, v8, v22
	v_fma_f32 v10, -v16, v4, 1.0
	v_fmac_f32_e32 v4, v10, v4
	v_div_scale_f32 v10, s[0:1], v27, v14, v27
	v_mul_f32_e32 v25, v8, v23
	v_mul_f32_e32 v23, v23, v7
	;; [unrolled: 1-line block ×3, first 2 shown]
	v_sub_f32_e32 v29, v7, v18
	v_mul_f32_e32 v20, v14, v14
	v_mul_f32_e32 v23, v29, v23
	v_div_scale_f32 v29, s[2:3], v20, v20, v23
	v_mul_f32_e32 v30, v26, v4
	v_fma_f32 v31, -v16, v30, v26
	v_fmac_f32_e32 v30, v31, v4
	v_rcp_f32_e32 v31, v28
	v_fma_f32 v16, -v16, v30, v26
	v_div_fmas_f32 v4, v16, v4, v30
	v_mov_b32_dpp v11, v9 row_bcast:31 row_mask:0xf bank_mask:0xf bound_ctrl:1
	v_fma_f32 v16, -v28, v31, 1.0
	v_fmac_f32_e32 v31, v16, v31
	v_mul_f32_e32 v16, v10, v31
	v_fma_f32 v26, -v28, v16, v10
	v_fmac_f32_e32 v16, v26, v31
	v_fma_f32 v10, -v28, v16, v10
	s_mov_b64 vcc, s[0:1]
	v_mul_f32_e32 v30, v18, v11
	v_div_fmas_f32 v10, v10, v31, v16
	v_div_scale_f32 v26, vcc, v23, v20, v23
	v_mul_f32_e32 v28, 0x40400000, v8
	v_fma_f32 v30, v9, v7, -v30
	v_mul_f32_e32 v28, v28, v30
	v_div_scale_f32 v30, s[0:1], v14, v14, v28
	v_rcp_f32_e32 v16, v29
	v_mul_f32_e32 v32, v7, v7
	v_mul_f32_e32 v25, v25, v7
	v_fma_f32 v33, -v18, v7, v32
	v_fma_f32 v31, -v29, v16, 1.0
	v_fmac_f32_e32 v16, v31, v16
	v_div_scale_f32 v31, s[0:1], v28, v14, v28
	v_mul_f32_e32 v25, v18, v25
	v_mul_f32_e32 v34, v26, v16
	v_fma_f32 v35, -v29, v34, v26
	v_fmac_f32_e32 v34, v35, v16
	v_fmac_f32_e32 v33, v18, v18
	v_mul_f32_e32 v21, v14, v20
	v_rcp_f32_e32 v35, v30
	v_mul_f32_e32 v25, v33, v25
	v_fma_f32 v26, -v29, v34, v26
	v_div_scale_f32 v33, s[2:3], v21, v21, v25
	v_div_fmas_f32 v16, v26, v16, v34
	v_fma_f32 v26, -v30, v35, 1.0
	v_fmac_f32_e32 v35, v26, v35
	v_mul_f32_e32 v26, v31, v35
	v_fma_f32 v29, -v30, v26, v31
	v_fmac_f32_e32 v26, v29, v35
	v_fma_f32 v29, -v30, v26, v31
	s_mov_b64 vcc, s[0:1]
	v_div_fmas_f32 v26, v29, v35, v26
	v_div_scale_f32 v30, vcc, v25, v21, v25
	v_mul_f32_e32 v24, v24, v11
	v_mul_f32_e32 v22, 0x40c00000, v22
	v_fmac_f32_e32 v24, v32, v9
	v_mul_f32_e32 v22, v22, v24
	v_div_scale_f32 v24, s[0:1], v20, v20, v22
	v_mov_b32_dpp v17, v12 row_bcast:31 row_mask:0xf bank_mask:0xf bound_ctrl:1
	v_mul_f32_e32 v18, v18, v17
	v_rcp_f32_e32 v29, v33
	v_div_scale_f32 v32, s[0:1], v22, v20, v22
	v_mul_f32_e32 v8, 4.0, v8
	v_fma_f32 v7, v12, v7, -v18
	v_mul_f32_e32 v7, v8, v7
	v_div_scale_f32 v8, s[2:3], v14, v14, v7
	v_fma_f32 v31, -v33, v29, 1.0
	v_fmac_f32_e32 v29, v31, v29
	v_mul_f32_e32 v18, v30, v29
	v_fma_f32 v31, -v33, v18, v30
	v_fmac_f32_e32 v18, v31, v29
	v_div_scale_f32 v31, s[2:3], v7, v14, v7
	v_rcp_f32_e32 v34, v24
	v_fma_f32 v30, -v33, v18, v30
	v_div_fmas_f32 v18, v30, v29, v18
	s_mov_b64 vcc, s[0:1]
	v_fma_f32 v29, -v24, v34, 1.0
	v_fmac_f32_e32 v34, v29, v34
	v_mul_f32_e32 v29, v32, v34
	v_fma_f32 v30, -v24, v29, v32
	v_fmac_f32_e32 v29, v30, v34
	v_rcp_f32_e32 v30, v8
	v_fma_f32 v24, -v24, v29, v32
	v_div_fmas_f32 v24, v24, v34, v29
	s_mov_b64 vcc, s[2:3]
	v_fma_f32 v29, -v8, v30, 1.0
	v_fmac_f32_e32 v30, v29, v30
	v_mul_f32_e32 v29, v31, v30
	v_fma_f32 v32, -v8, v29, v31
	v_fmac_f32_e32 v29, v32, v30
	v_fma_f32 v8, -v8, v29, v31
	v_div_fmas_f32 v8, v8, v30, v29
	v_add_f32_e32 v9, v9, v11
	v_div_fixup_f32 v10, v10, v14, v27
	v_add_f32_e32 v9, v9, v10
	v_add_f32_e32 v10, v12, v17
	v_div_fixup_f32 v11, v16, v20, v23
	v_mov_b32_dpp v19, v1 row_bcast:31 row_mask:0xf bank_mask:0xf bound_ctrl:1
	v_add_f32_e32 v10, v10, v11
	v_div_fixup_f32 v11, v26, v14, v28
	v_add_f32_e32 v10, v11, v10
	v_add_f32_e32 v1, v1, v19
	v_div_fixup_f32 v11, v18, v21, v25
	v_add_f32_e32 v1, v1, v11
	v_div_fixup_f32 v11, v24, v20, v22
	v_mbcnt_hi_u32_b32 v6, -1, v5
	v_add_f32_e32 v1, v11, v1
	v_div_fixup_f32 v7, v8, v14, v7
	v_div_fixup_f32 v4, v4, v14, v15
	v_add_f32_e32 v8, v7, v1
	v_lshlrev_b32_e32 v7, 2, v6
	v_add_f32_e32 v4, v4, v13
	v_or_b32_e32 v11, 0xfc, v7
	ds_bpermute_b32 v1, v11, v14
	ds_bpermute_b32 v2, v11, v2
	;; [unrolled: 1-line block ×7, first 2 shown]
	v_cmp_eq_u32_e32 vcc, 0, v6
	s_and_saveexec_b64 s[0:1], vcc
	s_cbranch_execz .LBB4_3
; %bb.2:
	v_lshrrev_b32_e32 v8, 6, v0
	v_mul_u32_u24_e32 v8, 28, v8
	s_waitcnt lgkmcnt(5)
	ds_write2_b32 v8, v1, v2 offset0:28 offset1:29
	s_waitcnt lgkmcnt(4)
	ds_write2_b32 v8, v3, v4 offset0:30 offset1:31
	s_waitcnt lgkmcnt(3)
	ds_write2_b32 v8, v9, v10 offset0:32 offset1:33
	s_waitcnt lgkmcnt(3)
	ds_write_b32 v8, v11 offset:136
.LBB4_3:
	s_or_b64 exec, exec, s[0:1]
	v_cmp_gt_u32_e32 vcc, 64, v0
	s_waitcnt lgkmcnt(0)
	s_barrier
	s_and_saveexec_b64 s[4:5], vcc
	s_cbranch_execz .LBB4_5
; %bb.4:
	v_and_b32_e32 v10, 3, v6
	v_mul_u32_u24_e32 v11, 28, v10
	ds_read2_b32 v[1:2], v11 offset0:28 offset1:29
	ds_read2_b32 v[3:4], v11 offset0:30 offset1:31
	;; [unrolled: 1-line block ×3, first 2 shown]
	ds_read_b32 v11, v11 offset:136
	v_cmp_ne_u32_e32 vcc, 3, v10
	v_addc_co_u32_e32 v6, vcc, 0, v6, vcc
	v_lshlrev_b32_e32 v6, 2, v6
	s_waitcnt lgkmcnt(2)
	ds_bpermute_b32 v12, v6, v4
	ds_bpermute_b32 v10, v6, v1
	ds_bpermute_b32 v16, v6, v2
	ds_bpermute_b32 v18, v6, v3
	s_waitcnt lgkmcnt(5)
	ds_bpermute_b32 v19, v6, v8
	s_waitcnt lgkmcnt(4)
	v_sub_f32_e32 v12, v12, v4
	s_waitcnt lgkmcnt(3)
	v_add_f32_e32 v13, v1, v10
	v_mul_f32_e32 v14, v12, v10
	v_div_scale_f32 v15, s[0:1], v13, v13, v14
	v_div_scale_f32 v17, vcc, v14, v13, v14
	v_mul_f32_e32 v22, v12, v12
	v_mul_f32_e32 v25, v1, v22
	;; [unrolled: 1-line block ×3, first 2 shown]
	v_div_scale_f32 v27, s[0:1], v13, v13, v25
	v_mul_f32_e32 v24, v12, v22
	v_mul_f32_e32 v21, v13, v13
	s_waitcnt lgkmcnt(1)
	v_cmp_lt_f32_e64 s[2:3], v3, v18
	v_cndmask_b32_e64 v3, v3, v18, s[2:3]
	v_mul_f32_e32 v18, 0x40400000, v12
	ds_bpermute_b32 v20, v6, v9
	v_mul_f32_e32 v23, v13, v21
	v_rcp_f32_e32 v26, v15
	v_mul_f32_e32 v22, 0x40c00000, v22
	ds_bpermute_b32 v6, v6, v11
	v_fma_f32 v28, -v15, v26, 1.0
	v_fmac_f32_e32 v26, v28, v26
	v_mul_f32_e32 v28, v17, v26
	v_fma_f32 v29, -v15, v28, v17
	v_fmac_f32_e32 v28, v29, v26
	v_fma_f32 v15, -v15, v28, v17
	v_div_fmas_f32 v15, v15, v26, v28
	v_mul_f32_e32 v26, v1, v24
	v_div_scale_f32 v17, vcc, v25, v13, v25
	v_mul_f32_e32 v26, v26, v10
	v_sub_f32_e32 v28, v1, v10
	v_mul_f32_e32 v26, v28, v26
	v_div_scale_f32 v28, s[0:1], v21, v21, v26
	v_cmp_gt_f32_e64 s[0:1], v2, v16
	v_cndmask_b32_e64 v2, v2, v16, s[0:1]
	v_div_scale_f32 v29, s[0:1], v26, v21, v26
	v_rcp_f32_e32 v16, v27
	v_mul_f32_e32 v24, v12, v24
	v_mul_f32_e32 v24, v1, v24
	v_div_fixup_f32 v14, v15, v13, v14
	v_add_f32_e32 v4, v4, v14
	v_fma_f32 v14, -v27, v16, 1.0
	v_fmac_f32_e32 v16, v14, v16
	v_mul_f32_e32 v14, v17, v16
	v_fma_f32 v15, -v27, v14, v17
	v_fmac_f32_e32 v14, v15, v16
	v_rcp_f32_e32 v15, v28
	v_fma_f32 v17, -v27, v14, v17
	v_div_fmas_f32 v14, v17, v16, v14
	v_mul_f32_e32 v27, v8, v10
	v_fma_f32 v16, -v28, v15, 1.0
	v_fmac_f32_e32 v15, v16, v15
	s_waitcnt lgkmcnt(2)
	v_fma_f32 v27, v1, v19, -v27
	v_mul_f32_e32 v16, v29, v15
	v_mul_f32_e32 v18, v18, v27
	v_fma_f32 v17, -v28, v16, v29
	v_div_scale_f32 v27, s[2:3], v13, v13, v18
	v_fmac_f32_e32 v16, v17, v15
	v_fma_f32 v17, -v28, v16, v29
	s_mov_b64 vcc, s[0:1]
	v_div_fmas_f32 v15, v17, v15, v16
	v_div_scale_f32 v17, vcc, v18, v13, v18
	v_add_f32_e32 v16, v8, v19
	v_div_fixup_f32 v14, v14, v13, v25
	v_mul_f32_e32 v28, v1, v1
	v_add_f32_e32 v14, v16, v14
	v_fma_f32 v29, -v1, v10, v28
	v_mul_f32_e32 v24, v24, v10
	v_fmac_f32_e32 v29, v10, v10
	v_mul_f32_e32 v24, v29, v24
	v_rcp_f32_e32 v16, v27
	s_waitcnt lgkmcnt(1)
	v_add_f32_e32 v25, v9, v20
	v_div_scale_f32 v29, s[0:1], v23, v23, v24
	v_mul_f32_e32 v19, v28, v19
	v_div_fixup_f32 v15, v15, v21, v26
	v_add_f32_e32 v15, v25, v15
	v_fma_f32 v25, -v27, v16, 1.0
	v_fmac_f32_e32 v16, v25, v16
	v_mul_f32_e32 v25, v17, v16
	v_fma_f32 v26, -v27, v25, v17
	v_fmac_f32_e32 v25, v26, v16
	v_fma_f32 v17, -v27, v25, v17
	v_div_fmas_f32 v16, v17, v16, v25
	v_div_scale_f32 v26, vcc, v24, v23, v24
	v_mul_f32_e32 v17, v10, v10
	v_fmac_f32_e32 v19, v8, v17
	v_mul_f32_e32 v8, v22, v19
	v_div_scale_f32 v17, s[0:1], v21, v21, v8
	v_mul_f32_e32 v9, v9, v10
	v_rcp_f32_e32 v25, v29
	v_div_scale_f32 v22, s[0:1], v8, v21, v8
	v_mul_f32_e32 v12, 4.0, v12
	v_fma_f32 v1, v1, v20, -v9
	v_mul_f32_e32 v9, v12, v1
	v_div_scale_f32 v1, s[2:3], v13, v13, v9
	v_fma_f32 v19, -v29, v25, 1.0
	v_fmac_f32_e32 v25, v19, v25
	v_mul_f32_e32 v10, v26, v25
	v_fma_f32 v12, -v29, v10, v26
	v_fmac_f32_e32 v10, v12, v25
	v_div_scale_f32 v12, s[2:3], v9, v13, v9
	v_rcp_f32_e32 v19, v17
	v_fma_f32 v20, -v29, v10, v26
	v_div_fmas_f32 v10, v20, v25, v10
	s_mov_b64 vcc, s[0:1]
	v_fma_f32 v20, -v17, v19, 1.0
	v_fmac_f32_e32 v19, v20, v19
	v_mul_f32_e32 v20, v22, v19
	v_fma_f32 v25, -v17, v20, v22
	v_fmac_f32_e32 v20, v25, v19
	v_rcp_f32_e32 v25, v1
	v_fma_f32 v17, -v17, v20, v22
	v_div_fmas_f32 v17, v17, v19, v20
	s_mov_b64 vcc, s[2:3]
	v_fma_f32 v19, -v1, v25, 1.0
	v_fmac_f32_e32 v25, v19, v25
	v_mul_f32_e32 v19, v12, v25
	v_fma_f32 v20, -v1, v19, v12
	v_fmac_f32_e32 v19, v20, v25
	v_fma_f32 v1, -v1, v19, v12
	v_div_fmas_f32 v12, v1, v25, v19
	v_div_fixup_f32 v1, v16, v13, v18
	v_add_f32_e32 v15, v1, v15
	s_waitcnt lgkmcnt(0)
	v_add_f32_e32 v1, v11, v6
	v_or_b32_e32 v6, 8, v7
	ds_bpermute_b32 v11, v6, v4
	ds_bpermute_b32 v7, v6, v13
	v_div_fixup_f32 v10, v10, v23, v24
	v_add_f32_e32 v10, v1, v10
	v_div_fixup_f32 v8, v17, v21, v8
	s_waitcnt lgkmcnt(1)
	v_sub_f32_e32 v11, v11, v4
	s_waitcnt lgkmcnt(0)
	v_add_f32_e32 v1, v13, v7
	v_mul_f32_e32 v16, v11, v7
	v_div_scale_f32 v17, s[0:1], v1, v1, v16
	v_add_f32_e32 v8, v8, v10
	v_div_fixup_f32 v9, v12, v13, v9
	v_add_f32_e32 v8, v9, v8
	ds_bpermute_b32 v9, v6, v2
	v_mul_f32_e32 v22, v11, v11
	v_mul_f32_e32 v26, v13, v22
	ds_bpermute_b32 v10, v6, v3
	v_mul_f32_e32 v26, v26, v7
	s_waitcnt lgkmcnt(1)
	v_cmp_gt_f32_e32 vcc, v2, v9
	v_cndmask_b32_e32 v2, v2, v9, vcc
	v_div_scale_f32 v25, vcc, v16, v1, v16
	v_div_scale_f32 v27, s[0:1], v1, v1, v26
	v_rcp_f32_e32 v9, v17
	s_waitcnt lgkmcnt(0)
	v_cmp_lt_f32_e64 s[0:1], v3, v10
	v_cndmask_b32_e64 v3, v3, v10, s[0:1]
	v_mul_f32_e32 v23, v11, v22
	v_fma_f32 v10, -v17, v9, 1.0
	v_fmac_f32_e32 v9, v10, v9
	v_div_scale_f32 v10, s[0:1], v26, v1, v26
	v_mul_f32_e32 v24, v11, v23
	v_mul_f32_e32 v23, v13, v23
	;; [unrolled: 1-line block ×3, first 2 shown]
	v_sub_f32_e32 v28, v13, v7
	v_mul_f32_e32 v29, v25, v9
	v_fma_f32 v30, -v17, v29, v25
	v_fmac_f32_e32 v29, v30, v9
	v_rcp_f32_e32 v30, v27
	v_mul_f32_e32 v19, v1, v1
	v_mul_f32_e32 v23, v28, v23
	v_div_scale_f32 v28, s[2:3], v19, v19, v23
	ds_bpermute_b32 v12, v6, v14
	v_fma_f32 v17, -v17, v29, v25
	v_div_fmas_f32 v9, v17, v9, v29
	v_fma_f32 v17, -v27, v30, 1.0
	v_fmac_f32_e32 v30, v17, v30
	v_mul_f32_e32 v25, v10, v30
	v_fma_f32 v29, -v27, v25, v10
	v_mul_f32_e32 v31, v14, v7
	v_div_scale_f32 v17, s[2:3], v23, v19, v23
	v_fmac_f32_e32 v25, v29, v30
	v_mul_f32_e32 v29, 0x40400000, v11
	s_waitcnt lgkmcnt(0)
	v_fma_f32 v31, v13, v12, -v31
	v_mul_f32_e32 v29, v29, v31
	v_div_scale_f32 v31, s[8:9], v1, v1, v29
	v_fma_f32 v10, -v27, v25, v10
	s_mov_b64 vcc, s[0:1]
	v_div_fmas_f32 v10, v10, v30, v25
	v_div_scale_f32 v30, s[0:1], v29, v1, v29
	v_rcp_f32_e32 v27, v28
	v_mul_f32_e32 v24, v13, v24
	v_fma_f32 v32, -v13, v7, v21
	v_mul_f32_e32 v24, v24, v7
	v_fma_f32 v25, -v28, v27, 1.0
	v_fmac_f32_e32 v27, v25, v27
	v_mul_f32_e32 v25, v17, v27
	v_fma_f32 v33, -v28, v25, v17
	v_fmac_f32_e32 v25, v33, v27
	v_rcp_f32_e32 v33, v31
	v_fmac_f32_e32 v32, v7, v7
	v_mul_f32_e32 v20, v1, v19
	v_mul_f32_e32 v24, v32, v24
	v_fma_f32 v17, -v28, v25, v17
	s_mov_b64 vcc, s[2:3]
	v_div_scale_f32 v32, s[8:9], v20, v20, v24
	v_div_fmas_f32 v17, v17, v27, v25
	v_fma_f32 v25, -v31, v33, 1.0
	v_fmac_f32_e32 v33, v25, v33
	v_mul_f32_e32 v25, v30, v33
	v_fma_f32 v27, -v31, v25, v30
	v_fmac_f32_e32 v25, v27, v33
	v_fma_f32 v27, -v31, v25, v30
	s_mov_b64 vcc, s[0:1]
	v_div_fmas_f32 v25, v27, v33, v25
	v_div_scale_f32 v30, vcc, v24, v20, v24
	v_mul_f32_e32 v27, v7, v7
	v_mul_f32_e32 v21, v21, v12
	;; [unrolled: 1-line block ×3, first 2 shown]
	v_fmac_f32_e32 v21, v27, v14
	v_mul_f32_e32 v21, v22, v21
	v_div_scale_f32 v22, s[0:1], v19, v19, v21
	ds_bpermute_b32 v18, v6, v15
	v_mul_f32_e32 v7, v15, v7
	v_rcp_f32_e32 v28, v32
	v_div_scale_f32 v31, s[0:1], v21, v19, v21
	v_mul_f32_e32 v11, 4.0, v11
	s_waitcnt lgkmcnt(0)
	v_fma_f32 v7, v13, v18, -v7
	v_mul_f32_e32 v7, v11, v7
	v_div_scale_f32 v11, s[2:3], v1, v1, v7
	v_fma_f32 v27, -v32, v28, 1.0
	v_fmac_f32_e32 v28, v27, v28
	v_mul_f32_e32 v13, v30, v28
	v_fma_f32 v27, -v32, v13, v30
	v_fmac_f32_e32 v13, v27, v28
	v_div_scale_f32 v27, s[2:3], v7, v1, v7
	v_rcp_f32_e32 v33, v22
	v_fma_f32 v30, -v32, v13, v30
	v_div_fmas_f32 v13, v30, v28, v13
	s_mov_b64 vcc, s[0:1]
	v_fma_f32 v28, -v22, v33, 1.0
	v_fmac_f32_e32 v33, v28, v33
	v_mul_f32_e32 v28, v31, v33
	v_fma_f32 v30, -v22, v28, v31
	v_fmac_f32_e32 v28, v30, v33
	v_rcp_f32_e32 v30, v11
	v_fma_f32 v22, -v22, v28, v31
	v_div_fmas_f32 v22, v22, v33, v28
	s_mov_b64 vcc, s[2:3]
	v_fma_f32 v28, -v11, v30, 1.0
	v_fmac_f32_e32 v30, v28, v30
	v_mul_f32_e32 v28, v27, v30
	v_fma_f32 v31, -v11, v28, v27
	v_fmac_f32_e32 v28, v31, v30
	v_fma_f32 v11, -v11, v28, v27
	v_div_fmas_f32 v11, v11, v30, v28
	ds_bpermute_b32 v6, v6, v8
	v_div_fixup_f32 v9, v9, v1, v16
	v_add_f32_e32 v4, v4, v9
	v_add_f32_e32 v9, v14, v12
	v_div_fixup_f32 v10, v10, v1, v26
	s_waitcnt lgkmcnt(0)
	v_add_f32_e32 v6, v8, v6
	v_div_fixup_f32 v8, v13, v20, v24
	v_add_f32_e32 v9, v9, v10
	v_add_f32_e32 v10, v15, v18
	v_div_fixup_f32 v12, v17, v19, v23
	v_add_f32_e32 v6, v6, v8
	v_div_fixup_f32 v8, v22, v19, v21
	;; [unrolled: 2-line block ×4, first 2 shown]
	v_add_f32_e32 v10, v12, v10
	v_add_f32_e32 v11, v7, v6
.LBB4_5:
	s_or_b64 exec, exec, s[4:5]
	s_branch .LBB4_32
.LBB4_6:
                                        ; implicit-def: $vgpr1
                                        ; implicit-def: $vgpr9
	s_cbranch_execz .LBB4_32
; %bb.7:
	s_sub_i32 s7, s12, s27
	v_cmp_gt_u32_e32 vcc, s7, v0
                                        ; implicit-def: $vgpr11
                                        ; implicit-def: $vgpr4
	s_and_saveexec_b64 s[0:1], vcc
	s_cbranch_execz .LBB4_9
; %bb.8:
	v_mad_u64_u32 v[6:7], s[2:3], v0, 28, s[28:29]
	global_load_dwordx4 v[1:4], v[6:7], off
	global_load_dwordx3 v[9:11], v[6:7], off offset:16
.LBB4_9:
	s_or_b64 exec, exec, s[0:1]
	v_or_b32_e32 v6, 0x100, v0
	v_cmp_gt_u32_e32 vcc, s7, v6
	s_and_saveexec_b64 s[30:31], vcc
	s_cbranch_execz .LBB4_11
; %bb.10:
	v_mad_u64_u32 v[16:17], s[0:1], v6, 28, s[28:29]
	global_load_dwordx4 v[12:15], v[16:17], off
	global_load_dwordx3 v[6:8], v[16:17], off offset:16
	s_waitcnt vmcnt(3)
	v_mul_f32_e32 v16, v1, v1
	s_waitcnt vmcnt(1)
	v_cmp_lt_f32_e32 vcc, v13, v2
	v_cndmask_b32_e32 v2, v2, v13, vcc
	v_cmp_lt_f32_e32 vcc, v3, v14
	v_sub_f32_e32 v15, v15, v4
	v_cndmask_b32_e32 v3, v3, v14, vcc
	v_fma_f32 v13, -v1, v12, v16
	v_mul_f32_e32 v14, v12, v12
	v_mul_f32_e32 v19, v9, v12
	s_waitcnt vmcnt(0)
	v_mul_f32_e32 v16, v16, v6
	v_add_f32_e32 v17, v1, v12
	v_mul_f32_e32 v20, v10, v12
	v_mul_f32_e32 v21, v15, v15
	;; [unrolled: 1-line block ×3, first 2 shown]
	v_fmac_f32_e32 v16, v9, v14
	v_fma_f32 v14, v1, v6, -v19
	v_mul_f32_e32 v23, 0x40400000, v15
	v_fma_f32 v19, v1, v7, -v20
	v_mul_f32_e32 v24, 4.0, v15
	v_mul_f32_e32 v25, v15, v21
	v_mul_f32_e32 v26, v1, v21
	v_div_scale_f32 v27, s[0:1], v17, v17, v22
	v_mul_f32_e32 v14, v23, v14
	v_mul_f32_e32 v19, v24, v19
	;; [unrolled: 1-line block ×4, first 2 shown]
	v_div_scale_f32 v26, s[0:1], v17, v17, v14
	v_sub_f32_e32 v18, v1, v12
	v_mul_f32_e32 v25, v1, v25
	v_mul_f32_e32 v1, v1, v15
	v_div_scale_f32 v15, s[2:3], v17, v17, v24
	v_div_scale_f32 v28, vcc, v22, v17, v22
	v_mul_f32_e32 v21, 0x40c00000, v21
	v_mul_f32_e32 v20, v17, v17
	;; [unrolled: 1-line block ×4, first 2 shown]
	v_div_scale_f32 v25, s[2:3], v24, v17, v24
	v_fmac_f32_e32 v13, v12, v12
	v_div_scale_f32 v30, s[4:5], v20, v20, v16
	v_mul_f32_e32 v1, v12, v1
	v_mul_f32_e32 v12, v18, v21
	v_div_scale_f32 v18, s[8:9], v20, v20, v12
	v_mul_f32_e32 v23, v17, v20
	v_mul_f32_e32 v1, v13, v1
	v_div_scale_f32 v32, s[10:11], v23, v23, v1
	v_div_scale_f32 v29, s[0:1], v14, v17, v14
	v_rcp_f32_e32 v13, v27
	v_rcp_f32_e32 v33, v26
	;; [unrolled: 1-line block ×3, first 2 shown]
	v_div_scale_f32 v21, s[8:9], v12, v20, v12
	v_fma_f32 v35, -v27, v13, 1.0
	v_fmac_f32_e32 v13, v35, v13
	v_fma_f32 v35, -v26, v33, 1.0
	v_mul_f32_e32 v36, v28, v13
	v_fmac_f32_e32 v33, v35, v33
	v_fma_f32 v35, -v15, v34, 1.0
	v_fmac_f32_e32 v34, v35, v34
	v_fma_f32 v35, -v27, v36, v28
	v_fmac_f32_e32 v36, v35, v13
	v_fma_f32 v27, -v27, v36, v28
	v_div_fmas_f32 v13, v27, v13, v36
	v_mul_f32_e32 v27, v25, v34
	v_rcp_f32_e32 v28, v30
	v_fma_f32 v36, -v15, v27, v25
	v_fmac_f32_e32 v27, v36, v34
	v_rcp_f32_e32 v36, v18
	v_fma_f32 v15, -v15, v27, v25
	s_mov_b64 vcc, s[2:3]
	v_rcp_f32_e32 v25, v32
	v_div_fmas_f32 v15, v15, v34, v27
	v_fma_f32 v27, -v30, v28, 1.0
	v_mul_f32_e32 v34, v29, v33
	v_fmac_f32_e32 v28, v27, v28
	v_fma_f32 v27, -v18, v36, 1.0
	v_div_scale_f32 v35, s[10:11], v1, v23, v1
	v_fmac_f32_e32 v36, v27, v36
	v_fma_f32 v27, -v26, v34, v29
	v_fmac_f32_e32 v34, v27, v33
	v_fma_f32 v27, -v32, v25, 1.0
	v_fma_f32 v26, -v26, v34, v29
	v_mul_f32_e32 v29, v21, v36
	v_fmac_f32_e32 v25, v27, v25
	v_fma_f32 v27, -v18, v29, v21
	v_div_scale_f32 v31, s[4:5], v16, v20, v16
	v_fmac_f32_e32 v29, v27, v36
	v_div_scale_f32 v27, s[2:3], v17, v17, v19
	v_fma_f32 v18, -v18, v29, v21
	v_div_scale_f32 v21, s[2:3], v19, v17, v19
	s_mov_b64 vcc, s[8:9]
	v_div_fmas_f32 v18, v18, v36, v29
	v_mul_f32_e32 v29, v35, v25
	v_fma_f32 v36, -v32, v29, v35
	v_fmac_f32_e32 v29, v36, v25
	s_mov_b64 vcc, s[0:1]
	v_fma_f32 v32, -v32, v29, v35
	v_div_fmas_f32 v26, v26, v33, v34
	s_mov_b64 vcc, s[10:11]
	v_mul_f32_e32 v36, v31, v28
	v_div_fmas_f32 v25, v32, v25, v29
	v_rcp_f32_e32 v29, v27
	v_fma_f32 v35, -v30, v36, v31
	v_fmac_f32_e32 v36, v35, v28
	v_fma_f32 v30, -v30, v36, v31
	s_mov_b64 vcc, s[4:5]
	v_div_fmas_f32 v28, v30, v28, v36
	v_fma_f32 v30, -v27, v29, 1.0
	v_fmac_f32_e32 v29, v30, v29
	v_mul_f32_e32 v30, v21, v29
	v_fma_f32 v31, -v27, v30, v21
	v_fmac_f32_e32 v30, v31, v29
	v_fma_f32 v21, -v27, v30, v21
	s_mov_b64 vcc, s[2:3]
	v_div_fmas_f32 v21, v21, v29, v30
	v_add_f32_e32 v6, v9, v6
	v_div_fixup_f32 v9, v13, v17, v22
	v_add_f32_e32 v8, v11, v8
	v_add_f32_e32 v4, v4, v9
	v_div_fixup_f32 v9, v15, v17, v24
	v_div_fixup_f32 v1, v25, v23, v1
	v_add_f32_e32 v7, v10, v7
	v_add_f32_e32 v6, v6, v9
	v_div_fixup_f32 v9, v18, v20, v12
	v_add_f32_e32 v1, v8, v1
	v_div_fixup_f32 v8, v28, v20, v16
	;; [unrolled: 2-line block ×3, first 2 shown]
	v_add_f32_e32 v1, v8, v1
	v_add_f32_e32 v10, v9, v7
	v_div_fixup_f32 v8, v21, v17, v19
	v_add_f32_e32 v11, v8, v1
	v_mov_b32_e32 v9, v6
	v_mov_b32_e32 v1, v17
.LBB4_11:
	s_or_b64 exec, exec, s[30:31]
	v_mbcnt_hi_u32_b32 v5, -1, v5
	v_and_b32_e32 v6, 63, v5
	v_cmp_ne_u32_e32 vcc, 63, v6
	v_addc_co_u32_e32 v7, vcc, 0, v5, vcc
	v_lshlrev_b32_e32 v7, 2, v7
	s_waitcnt vmcnt(1)
	ds_bpermute_b32 v16, v7, v1
	ds_bpermute_b32 v15, v7, v2
	;; [unrolled: 1-line block ×4, first 2 shown]
	s_waitcnt vmcnt(0)
	ds_bpermute_b32 v13, v7, v9
	ds_bpermute_b32 v12, v7, v10
	;; [unrolled: 1-line block ×3, first 2 shown]
	s_min_u32 s7, s7, 0x100
	v_and_b32_e32 v7, 0xc0, v0
	v_sub_u32_e64 v7, s7, v7 clamp
	v_add_u32_e32 v18, 1, v6
	v_cmp_lt_u32_e32 vcc, v18, v7
	s_and_saveexec_b64 s[0:1], vcc
	s_xor_b64 s[4:5], exec, s[0:1]
	s_cbranch_execz .LBB4_13
; %bb.12:
	s_waitcnt lgkmcnt(3)
	v_sub_f32_e32 v17, v17, v4
	v_add_f32_e32 v18, v1, v16
	v_mul_f32_e32 v19, v17, v16
	v_div_scale_f32 v20, s[0:1], v18, v18, v19
	v_mul_f32_e32 v22, v17, v17
	v_div_scale_f32 v23, vcc, v19, v18, v19
	v_mul_f32_e32 v24, v1, v22
	v_mul_f32_e32 v24, v24, v16
	v_div_scale_f32 v26, s[0:1], v18, v18, v24
	v_mul_f32_e32 v25, v17, v22
	v_mul_f32_e32 v27, v1, v25
	v_sub_f32_e32 v21, v1, v16
	v_div_scale_f32 v28, s[0:1], v24, v18, v24
	v_mul_f32_e32 v27, v27, v16
	v_mul_f32_e32 v21, v21, v27
	;; [unrolled: 1-line block ×3, first 2 shown]
	v_rcp_f32_e32 v29, v20
	v_div_scale_f32 v30, s[2:3], v27, v27, v21
	v_mul_f32_e32 v25, v17, v25
	v_fma_f32 v31, -v20, v29, 1.0
	v_fmac_f32_e32 v29, v31, v29
	v_mul_f32_e32 v31, v23, v29
	v_fma_f32 v32, -v20, v31, v23
	v_fmac_f32_e32 v31, v32, v29
	v_rcp_f32_e32 v32, v26
	v_fma_f32 v20, -v20, v31, v23
	v_div_fmas_f32 v20, v20, v29, v31
	s_mov_b64 vcc, s[0:1]
	v_fma_f32 v23, -v26, v32, 1.0
	v_fmac_f32_e32 v32, v23, v32
	v_mul_f32_e32 v23, v28, v32
	v_fma_f32 v29, -v26, v23, v28
	v_fmac_f32_e32 v23, v29, v32
	v_rcp_f32_e32 v29, v30
	v_fma_f32 v26, -v26, v23, v28
	v_div_fmas_f32 v23, v26, v32, v23
	v_mul_f32_e32 v28, v9, v16
	v_fma_f32 v26, -v30, v29, 1.0
	v_fmac_f32_e32 v29, v26, v29
	v_div_scale_f32 v26, vcc, v21, v27, v21
	s_waitcnt lgkmcnt(2)
	v_fma_f32 v28, v1, v13, -v28
	v_mul_f32_e32 v31, 0x40400000, v17
	v_mul_f32_e32 v28, v31, v28
	v_div_scale_f32 v31, s[0:1], v18, v18, v28
	v_div_scale_f32 v32, s[0:1], v28, v18, v28
	v_mul_f32_e32 v33, v1, v1
	v_mul_f32_e32 v25, v1, v25
	v_fma_f32 v34, -v1, v16, v33
	v_mul_f32_e32 v25, v25, v16
	v_fmac_f32_e32 v34, v16, v16
	v_mul_f32_e32 v25, v34, v25
	v_mul_f32_e32 v34, v18, v27
	;; [unrolled: 1-line block ×3, first 2 shown]
	v_fma_f32 v37, -v30, v36, v26
	v_fmac_f32_e32 v36, v37, v29
	v_fma_f32 v26, -v30, v36, v26
	v_div_scale_f32 v35, s[2:3], v34, v34, v25
	v_rcp_f32_e32 v37, v31
	v_div_fmas_f32 v26, v26, v29, v36
	s_mov_b64 vcc, s[0:1]
	v_mul_f32_e32 v22, 0x40c00000, v22
	v_fma_f32 v29, -v31, v37, 1.0
	v_fmac_f32_e32 v37, v29, v37
	v_mul_f32_e32 v29, v32, v37
	v_fma_f32 v30, -v31, v29, v32
	v_fmac_f32_e32 v29, v30, v37
	v_fma_f32 v30, -v31, v29, v32
	v_div_fmas_f32 v29, v30, v37, v29
	v_div_scale_f32 v31, vcc, v25, v34, v25
	v_mul_f32_e32 v32, v33, v13
	v_mul_f32_e32 v33, v16, v16
	v_fmac_f32_e32 v32, v9, v33
	v_mul_f32_e32 v22, v22, v32
	v_div_scale_f32 v32, s[0:1], v27, v27, v22
	v_mul_f32_e32 v16, v10, v16
	v_rcp_f32_e32 v30, v35
	v_div_scale_f32 v36, s[0:1], v22, v27, v22
	v_mul_f32_e32 v17, 4.0, v17
	s_waitcnt lgkmcnt(1)
	v_fma_f32 v1, v1, v12, -v16
	v_mul_f32_e32 v1, v17, v1
	v_div_scale_f32 v16, s[2:3], v18, v18, v1
	v_fma_f32 v33, -v35, v30, 1.0
	v_fmac_f32_e32 v30, v33, v30
	v_mul_f32_e32 v17, v31, v30
	v_fma_f32 v33, -v35, v17, v31
	v_fmac_f32_e32 v17, v33, v30
	v_div_scale_f32 v33, s[2:3], v1, v18, v1
	v_rcp_f32_e32 v37, v32
	v_fma_f32 v31, -v35, v17, v31
	v_div_fmas_f32 v17, v31, v30, v17
	s_mov_b64 vcc, s[0:1]
	v_fma_f32 v30, -v32, v37, 1.0
	v_fmac_f32_e32 v37, v30, v37
	v_mul_f32_e32 v30, v36, v37
	v_fma_f32 v31, -v32, v30, v36
	v_fmac_f32_e32 v30, v31, v37
	v_rcp_f32_e32 v31, v16
	v_fma_f32 v32, -v32, v30, v36
	v_div_fmas_f32 v30, v32, v37, v30
	s_mov_b64 vcc, s[2:3]
	v_fma_f32 v32, -v16, v31, 1.0
	v_fmac_f32_e32 v31, v32, v31
	v_mul_f32_e32 v32, v33, v31
	v_fma_f32 v35, -v16, v32, v33
	v_fmac_f32_e32 v32, v35, v31
	v_fma_f32 v16, -v16, v32, v33
	v_div_fmas_f32 v16, v16, v31, v32
	v_cmp_gt_f32_e32 vcc, v2, v15
	s_waitcnt lgkmcnt(0)
	v_add_f32_e32 v8, v11, v8
	v_div_fixup_f32 v11, v17, v34, v25
	v_cndmask_b32_e32 v2, v2, v15, vcc
	v_cmp_lt_f32_e32 vcc, v3, v14
	v_add_f32_e32 v10, v10, v12
	v_div_fixup_f32 v12, v26, v27, v21
	v_add_f32_e32 v8, v8, v11
	v_div_fixup_f32 v11, v30, v27, v22
	v_cndmask_b32_e32 v3, v3, v14, vcc
	v_div_fixup_f32 v14, v20, v18, v19
	v_add_f32_e32 v9, v9, v13
	v_div_fixup_f32 v13, v23, v18, v24
	v_add_f32_e32 v10, v10, v12
	;; [unrolled: 2-line block ×4, first 2 shown]
	v_add_f32_e32 v9, v9, v13
	v_add_f32_e32 v10, v12, v10
	;; [unrolled: 1-line block ×3, first 2 shown]
	v_mov_b32_e32 v1, v18
.LBB4_13:
	s_or_b64 exec, exec, s[4:5]
	v_cmp_gt_u32_e32 vcc, 62, v6
	s_waitcnt lgkmcnt(0)
	v_cndmask_b32_e64 v8, 0, 2, vcc
	v_add_lshl_u32 v8, v8, v5, 2
	ds_bpermute_b32 v14, v8, v1
	ds_bpermute_b32 v16, v8, v2
	;; [unrolled: 1-line block ×7, first 2 shown]
	v_add_u32_e32 v18, 2, v6
	v_cmp_lt_u32_e32 vcc, v18, v7
	s_and_saveexec_b64 s[4:5], vcc
	s_cbranch_execz .LBB4_15
; %bb.14:
	s_waitcnt lgkmcnt(3)
	v_sub_f32_e32 v17, v17, v4
	v_add_f32_e32 v18, v1, v14
	v_mul_f32_e32 v19, v17, v14
	v_div_scale_f32 v20, s[0:1], v18, v18, v19
	v_cmp_gt_f32_e64 s[0:1], v2, v16
	v_cndmask_b32_e64 v2, v2, v16, s[0:1]
	v_mul_f32_e32 v16, v17, v17
	v_div_scale_f32 v21, vcc, v19, v18, v19
	v_mul_f32_e32 v23, v1, v16
	v_cmp_lt_f32_e64 s[0:1], v3, v15
	v_mul_f32_e32 v23, v23, v14
	v_cndmask_b32_e64 v3, v3, v15, s[0:1]
	v_div_scale_f32 v25, s[0:1], v18, v18, v23
	v_div_scale_f32 v30, s[0:1], v23, v18, v23
	v_mul_f32_e32 v26, v17, v16
	v_rcp_f32_e32 v24, v20
	v_mul_f32_e32 v27, v17, v26
	v_mul_f32_e32 v26, v1, v26
	;; [unrolled: 1-line block ×3, first 2 shown]
	v_fma_f32 v28, -v20, v24, 1.0
	v_fmac_f32_e32 v24, v28, v24
	v_mul_f32_e32 v28, v21, v24
	v_fma_f32 v29, -v20, v28, v21
	v_fmac_f32_e32 v28, v29, v24
	v_sub_f32_e32 v31, v1, v14
	v_mul_f32_e32 v15, v18, v18
	v_rcp_f32_e32 v29, v25
	v_mul_f32_e32 v26, v31, v26
	v_fma_f32 v20, -v20, v28, v21
	v_div_scale_f32 v31, s[2:3], v15, v15, v26
	v_fma_f32 v21, -v25, v29, 1.0
	v_fmac_f32_e32 v29, v21, v29
	v_div_fmas_f32 v20, v20, v24, v28
	v_mul_f32_e32 v24, v30, v29
	v_fma_f32 v28, -v25, v24, v30
	v_fmac_f32_e32 v24, v28, v29
	v_fma_f32 v25, -v25, v24, v30
	s_mov_b64 vcc, s[0:1]
	v_div_fmas_f32 v24, v25, v29, v24
	v_mul_f32_e32 v29, v9, v14
	v_div_scale_f32 v21, s[2:3], v26, v15, v26
	v_mul_f32_e32 v28, 0x40400000, v17
	s_waitcnt lgkmcnt(2)
	v_fma_f32 v29, v1, v13, -v29
	v_mul_f32_e32 v28, v28, v29
	v_div_scale_f32 v29, s[0:1], v18, v18, v28
	v_div_scale_f32 v32, s[0:1], v28, v18, v28
	v_rcp_f32_e32 v25, v31
	v_mul_f32_e32 v33, v1, v1
	v_mul_f32_e32 v27, v1, v27
	v_fma_f32 v34, -v1, v14, v33
	v_fma_f32 v30, -v31, v25, 1.0
	v_fmac_f32_e32 v25, v30, v25
	v_mul_f32_e32 v27, v27, v14
	v_mul_f32_e32 v30, v21, v25
	v_fma_f32 v35, -v31, v30, v21
	v_fmac_f32_e32 v30, v35, v25
	v_fmac_f32_e32 v34, v14, v14
	v_mul_f32_e32 v22, v18, v15
	v_rcp_f32_e32 v35, v29
	v_mul_f32_e32 v27, v34, v27
	v_fma_f32 v21, -v31, v30, v21
	s_mov_b64 vcc, s[2:3]
	v_div_scale_f32 v34, s[8:9], v22, v22, v27
	v_div_fmas_f32 v21, v21, v25, v30
	v_fma_f32 v25, -v29, v35, 1.0
	v_fmac_f32_e32 v35, v25, v35
	v_mul_f32_e32 v25, v32, v35
	v_fma_f32 v30, -v29, v25, v32
	v_fmac_f32_e32 v25, v30, v35
	v_fma_f32 v29, -v29, v25, v32
	s_mov_b64 vcc, s[0:1]
	v_div_fmas_f32 v25, v29, v35, v25
	v_div_scale_f32 v31, vcc, v27, v22, v27
	v_mul_f32_e32 v29, v14, v14
	v_mul_f32_e32 v32, v33, v13
	;; [unrolled: 1-line block ×3, first 2 shown]
	v_fmac_f32_e32 v32, v9, v29
	v_mul_f32_e32 v16, v16, v32
	v_div_scale_f32 v29, s[0:1], v15, v15, v16
	v_mul_f32_e32 v14, v10, v14
	v_rcp_f32_e32 v30, v34
	v_div_scale_f32 v33, s[0:1], v16, v15, v16
	v_mul_f32_e32 v17, 4.0, v17
	s_waitcnt lgkmcnt(1)
	v_fma_f32 v1, v1, v12, -v14
	v_mul_f32_e32 v1, v17, v1
	v_div_scale_f32 v14, s[2:3], v18, v18, v1
	v_fma_f32 v32, -v34, v30, 1.0
	v_fmac_f32_e32 v30, v32, v30
	v_mul_f32_e32 v17, v31, v30
	v_fma_f32 v32, -v34, v17, v31
	v_fmac_f32_e32 v17, v32, v30
	v_div_scale_f32 v32, s[2:3], v1, v18, v1
	v_rcp_f32_e32 v35, v29
	v_fma_f32 v31, -v34, v17, v31
	v_div_fmas_f32 v17, v31, v30, v17
	s_mov_b64 vcc, s[0:1]
	v_fma_f32 v30, -v29, v35, 1.0
	v_fmac_f32_e32 v35, v30, v35
	v_mul_f32_e32 v30, v33, v35
	v_fma_f32 v31, -v29, v30, v33
	v_fmac_f32_e32 v30, v31, v35
	v_rcp_f32_e32 v31, v14
	v_fma_f32 v29, -v29, v30, v33
	v_div_fmas_f32 v29, v29, v35, v30
	s_mov_b64 vcc, s[2:3]
	v_fma_f32 v30, -v14, v31, 1.0
	v_fmac_f32_e32 v31, v30, v31
	v_mul_f32_e32 v30, v32, v31
	v_fma_f32 v33, -v14, v30, v32
	v_fmac_f32_e32 v30, v33, v31
	v_fma_f32 v14, -v14, v30, v32
	v_div_fmas_f32 v14, v14, v31, v30
	s_waitcnt lgkmcnt(0)
	v_add_f32_e32 v8, v11, v8
	v_div_fixup_f32 v11, v17, v22, v27
	v_add_f32_e32 v10, v10, v12
	v_div_fixup_f32 v12, v21, v15, v26
	;; [unrolled: 2-line block ×4, first 2 shown]
	v_div_fixup_f32 v13, v24, v18, v23
	v_add_f32_e32 v10, v10, v12
	v_div_fixup_f32 v12, v25, v18, v28
	v_add_f32_e32 v8, v11, v8
	v_add_f32_e32 v4, v4, v19
	;; [unrolled: 1-line block ×4, first 2 shown]
	v_div_fixup_f32 v1, v14, v18, v1
	v_add_f32_e32 v11, v1, v8
	v_mov_b32_e32 v1, v18
.LBB4_15:
	s_or_b64 exec, exec, s[4:5]
	v_cmp_gt_u32_e32 vcc, 60, v6
	s_waitcnt lgkmcnt(0)
	v_cndmask_b32_e64 v8, 0, 4, vcc
	v_add_lshl_u32 v8, v8, v5, 2
	ds_bpermute_b32 v14, v8, v1
	ds_bpermute_b32 v16, v8, v2
	;; [unrolled: 1-line block ×7, first 2 shown]
	v_add_u32_e32 v18, 4, v6
	v_cmp_lt_u32_e32 vcc, v18, v7
	s_and_saveexec_b64 s[4:5], vcc
	s_cbranch_execz .LBB4_17
; %bb.16:
	s_waitcnt lgkmcnt(3)
	v_sub_f32_e32 v17, v17, v4
	v_add_f32_e32 v18, v1, v14
	v_mul_f32_e32 v19, v17, v14
	v_div_scale_f32 v20, s[0:1], v18, v18, v19
	v_cmp_gt_f32_e64 s[0:1], v2, v16
	v_cndmask_b32_e64 v2, v2, v16, s[0:1]
	v_mul_f32_e32 v16, v17, v17
	v_div_scale_f32 v21, vcc, v19, v18, v19
	v_mul_f32_e32 v23, v1, v16
	v_cmp_lt_f32_e64 s[0:1], v3, v15
	v_mul_f32_e32 v23, v23, v14
	v_cndmask_b32_e64 v3, v3, v15, s[0:1]
	v_div_scale_f32 v25, s[0:1], v18, v18, v23
	v_div_scale_f32 v30, s[0:1], v23, v18, v23
	v_mul_f32_e32 v26, v17, v16
	v_rcp_f32_e32 v24, v20
	v_mul_f32_e32 v27, v17, v26
	v_mul_f32_e32 v26, v1, v26
	;; [unrolled: 1-line block ×3, first 2 shown]
	v_fma_f32 v28, -v20, v24, 1.0
	v_fmac_f32_e32 v24, v28, v24
	v_mul_f32_e32 v28, v21, v24
	v_fma_f32 v29, -v20, v28, v21
	v_fmac_f32_e32 v28, v29, v24
	v_sub_f32_e32 v31, v1, v14
	v_mul_f32_e32 v15, v18, v18
	v_rcp_f32_e32 v29, v25
	v_mul_f32_e32 v26, v31, v26
	v_fma_f32 v20, -v20, v28, v21
	v_div_scale_f32 v31, s[2:3], v15, v15, v26
	v_fma_f32 v21, -v25, v29, 1.0
	v_fmac_f32_e32 v29, v21, v29
	v_div_fmas_f32 v20, v20, v24, v28
	v_mul_f32_e32 v24, v30, v29
	v_fma_f32 v28, -v25, v24, v30
	v_fmac_f32_e32 v24, v28, v29
	v_fma_f32 v25, -v25, v24, v30
	s_mov_b64 vcc, s[0:1]
	v_div_fmas_f32 v24, v25, v29, v24
	v_mul_f32_e32 v29, v9, v14
	v_div_scale_f32 v21, s[2:3], v26, v15, v26
	v_mul_f32_e32 v28, 0x40400000, v17
	s_waitcnt lgkmcnt(2)
	v_fma_f32 v29, v1, v13, -v29
	v_mul_f32_e32 v28, v28, v29
	v_div_scale_f32 v29, s[0:1], v18, v18, v28
	v_div_scale_f32 v32, s[0:1], v28, v18, v28
	v_rcp_f32_e32 v25, v31
	v_mul_f32_e32 v33, v1, v1
	v_mul_f32_e32 v27, v1, v27
	v_fma_f32 v34, -v1, v14, v33
	v_fma_f32 v30, -v31, v25, 1.0
	v_fmac_f32_e32 v25, v30, v25
	v_mul_f32_e32 v27, v27, v14
	v_mul_f32_e32 v30, v21, v25
	v_fma_f32 v35, -v31, v30, v21
	v_fmac_f32_e32 v30, v35, v25
	v_fmac_f32_e32 v34, v14, v14
	v_mul_f32_e32 v22, v18, v15
	v_rcp_f32_e32 v35, v29
	v_mul_f32_e32 v27, v34, v27
	v_fma_f32 v21, -v31, v30, v21
	s_mov_b64 vcc, s[2:3]
	v_div_scale_f32 v34, s[8:9], v22, v22, v27
	v_div_fmas_f32 v21, v21, v25, v30
	v_fma_f32 v25, -v29, v35, 1.0
	v_fmac_f32_e32 v35, v25, v35
	v_mul_f32_e32 v25, v32, v35
	v_fma_f32 v30, -v29, v25, v32
	v_fmac_f32_e32 v25, v30, v35
	v_fma_f32 v29, -v29, v25, v32
	s_mov_b64 vcc, s[0:1]
	v_div_fmas_f32 v25, v29, v35, v25
	v_div_scale_f32 v31, vcc, v27, v22, v27
	v_mul_f32_e32 v29, v14, v14
	v_mul_f32_e32 v32, v33, v13
	;; [unrolled: 1-line block ×3, first 2 shown]
	v_fmac_f32_e32 v32, v9, v29
	v_mul_f32_e32 v16, v16, v32
	v_div_scale_f32 v29, s[0:1], v15, v15, v16
	v_mul_f32_e32 v14, v10, v14
	v_rcp_f32_e32 v30, v34
	v_div_scale_f32 v33, s[0:1], v16, v15, v16
	v_mul_f32_e32 v17, 4.0, v17
	s_waitcnt lgkmcnt(1)
	v_fma_f32 v1, v1, v12, -v14
	v_mul_f32_e32 v1, v17, v1
	v_div_scale_f32 v14, s[2:3], v18, v18, v1
	v_fma_f32 v32, -v34, v30, 1.0
	v_fmac_f32_e32 v30, v32, v30
	v_mul_f32_e32 v17, v31, v30
	v_fma_f32 v32, -v34, v17, v31
	v_fmac_f32_e32 v17, v32, v30
	v_div_scale_f32 v32, s[2:3], v1, v18, v1
	v_rcp_f32_e32 v35, v29
	v_fma_f32 v31, -v34, v17, v31
	v_div_fmas_f32 v17, v31, v30, v17
	s_mov_b64 vcc, s[0:1]
	v_fma_f32 v30, -v29, v35, 1.0
	v_fmac_f32_e32 v35, v30, v35
	v_mul_f32_e32 v30, v33, v35
	v_fma_f32 v31, -v29, v30, v33
	v_fmac_f32_e32 v30, v31, v35
	v_rcp_f32_e32 v31, v14
	v_fma_f32 v29, -v29, v30, v33
	v_div_fmas_f32 v29, v29, v35, v30
	s_mov_b64 vcc, s[2:3]
	v_fma_f32 v30, -v14, v31, 1.0
	v_fmac_f32_e32 v31, v30, v31
	v_mul_f32_e32 v30, v32, v31
	v_fma_f32 v33, -v14, v30, v32
	v_fmac_f32_e32 v30, v33, v31
	v_fma_f32 v14, -v14, v30, v32
	v_div_fmas_f32 v14, v14, v31, v30
	s_waitcnt lgkmcnt(0)
	v_add_f32_e32 v8, v11, v8
	v_div_fixup_f32 v11, v17, v22, v27
	v_add_f32_e32 v10, v10, v12
	v_div_fixup_f32 v12, v21, v15, v26
	;; [unrolled: 2-line block ×4, first 2 shown]
	v_div_fixup_f32 v13, v24, v18, v23
	v_add_f32_e32 v10, v10, v12
	v_div_fixup_f32 v12, v25, v18, v28
	v_add_f32_e32 v8, v11, v8
	v_add_f32_e32 v4, v4, v19
	;; [unrolled: 1-line block ×4, first 2 shown]
	v_div_fixup_f32 v1, v14, v18, v1
	v_add_f32_e32 v11, v1, v8
	v_mov_b32_e32 v1, v18
.LBB4_17:
	s_or_b64 exec, exec, s[4:5]
	v_cmp_gt_u32_e32 vcc, 56, v6
	s_waitcnt lgkmcnt(0)
	v_cndmask_b32_e64 v8, 0, 8, vcc
	v_add_lshl_u32 v8, v8, v5, 2
	ds_bpermute_b32 v14, v8, v1
	ds_bpermute_b32 v16, v8, v2
	;; [unrolled: 1-line block ×7, first 2 shown]
	v_add_u32_e32 v18, 8, v6
	v_cmp_lt_u32_e32 vcc, v18, v7
	s_and_saveexec_b64 s[4:5], vcc
	s_cbranch_execz .LBB4_19
; %bb.18:
	s_waitcnt lgkmcnt(3)
	v_sub_f32_e32 v17, v17, v4
	v_add_f32_e32 v18, v1, v14
	v_mul_f32_e32 v19, v17, v14
	v_div_scale_f32 v20, s[0:1], v18, v18, v19
	v_cmp_gt_f32_e64 s[0:1], v2, v16
	v_cndmask_b32_e64 v2, v2, v16, s[0:1]
	v_mul_f32_e32 v16, v17, v17
	v_div_scale_f32 v21, vcc, v19, v18, v19
	v_mul_f32_e32 v23, v1, v16
	v_cmp_lt_f32_e64 s[0:1], v3, v15
	v_mul_f32_e32 v23, v23, v14
	v_cndmask_b32_e64 v3, v3, v15, s[0:1]
	v_div_scale_f32 v25, s[0:1], v18, v18, v23
	v_div_scale_f32 v30, s[0:1], v23, v18, v23
	v_mul_f32_e32 v26, v17, v16
	v_rcp_f32_e32 v24, v20
	v_mul_f32_e32 v27, v17, v26
	v_mul_f32_e32 v26, v1, v26
	;; [unrolled: 1-line block ×3, first 2 shown]
	v_fma_f32 v28, -v20, v24, 1.0
	v_fmac_f32_e32 v24, v28, v24
	v_mul_f32_e32 v28, v21, v24
	v_fma_f32 v29, -v20, v28, v21
	v_fmac_f32_e32 v28, v29, v24
	v_sub_f32_e32 v31, v1, v14
	v_mul_f32_e32 v15, v18, v18
	v_rcp_f32_e32 v29, v25
	v_mul_f32_e32 v26, v31, v26
	v_fma_f32 v20, -v20, v28, v21
	v_div_scale_f32 v31, s[2:3], v15, v15, v26
	v_fma_f32 v21, -v25, v29, 1.0
	v_fmac_f32_e32 v29, v21, v29
	v_div_fmas_f32 v20, v20, v24, v28
	v_mul_f32_e32 v24, v30, v29
	v_fma_f32 v28, -v25, v24, v30
	v_fmac_f32_e32 v24, v28, v29
	v_fma_f32 v25, -v25, v24, v30
	s_mov_b64 vcc, s[0:1]
	v_div_fmas_f32 v24, v25, v29, v24
	v_mul_f32_e32 v29, v9, v14
	v_div_scale_f32 v21, s[2:3], v26, v15, v26
	v_mul_f32_e32 v28, 0x40400000, v17
	s_waitcnt lgkmcnt(2)
	v_fma_f32 v29, v1, v13, -v29
	v_mul_f32_e32 v28, v28, v29
	v_div_scale_f32 v29, s[0:1], v18, v18, v28
	v_div_scale_f32 v32, s[0:1], v28, v18, v28
	v_rcp_f32_e32 v25, v31
	v_mul_f32_e32 v33, v1, v1
	v_mul_f32_e32 v27, v1, v27
	v_fma_f32 v34, -v1, v14, v33
	v_fma_f32 v30, -v31, v25, 1.0
	v_fmac_f32_e32 v25, v30, v25
	v_mul_f32_e32 v27, v27, v14
	v_mul_f32_e32 v30, v21, v25
	v_fma_f32 v35, -v31, v30, v21
	v_fmac_f32_e32 v30, v35, v25
	v_fmac_f32_e32 v34, v14, v14
	v_mul_f32_e32 v22, v18, v15
	v_rcp_f32_e32 v35, v29
	v_mul_f32_e32 v27, v34, v27
	v_fma_f32 v21, -v31, v30, v21
	s_mov_b64 vcc, s[2:3]
	v_div_scale_f32 v34, s[8:9], v22, v22, v27
	v_div_fmas_f32 v21, v21, v25, v30
	v_fma_f32 v25, -v29, v35, 1.0
	v_fmac_f32_e32 v35, v25, v35
	v_mul_f32_e32 v25, v32, v35
	v_fma_f32 v30, -v29, v25, v32
	v_fmac_f32_e32 v25, v30, v35
	v_fma_f32 v29, -v29, v25, v32
	s_mov_b64 vcc, s[0:1]
	v_div_fmas_f32 v25, v29, v35, v25
	v_div_scale_f32 v31, vcc, v27, v22, v27
	v_mul_f32_e32 v29, v14, v14
	v_mul_f32_e32 v32, v33, v13
	;; [unrolled: 1-line block ×3, first 2 shown]
	v_fmac_f32_e32 v32, v9, v29
	v_mul_f32_e32 v16, v16, v32
	v_div_scale_f32 v29, s[0:1], v15, v15, v16
	v_mul_f32_e32 v14, v10, v14
	v_rcp_f32_e32 v30, v34
	v_div_scale_f32 v33, s[0:1], v16, v15, v16
	v_mul_f32_e32 v17, 4.0, v17
	s_waitcnt lgkmcnt(1)
	v_fma_f32 v1, v1, v12, -v14
	v_mul_f32_e32 v1, v17, v1
	v_div_scale_f32 v14, s[2:3], v18, v18, v1
	v_fma_f32 v32, -v34, v30, 1.0
	v_fmac_f32_e32 v30, v32, v30
	v_mul_f32_e32 v17, v31, v30
	v_fma_f32 v32, -v34, v17, v31
	v_fmac_f32_e32 v17, v32, v30
	v_div_scale_f32 v32, s[2:3], v1, v18, v1
	v_rcp_f32_e32 v35, v29
	v_fma_f32 v31, -v34, v17, v31
	v_div_fmas_f32 v17, v31, v30, v17
	s_mov_b64 vcc, s[0:1]
	v_fma_f32 v30, -v29, v35, 1.0
	v_fmac_f32_e32 v35, v30, v35
	v_mul_f32_e32 v30, v33, v35
	v_fma_f32 v31, -v29, v30, v33
	v_fmac_f32_e32 v30, v31, v35
	v_rcp_f32_e32 v31, v14
	v_fma_f32 v29, -v29, v30, v33
	v_div_fmas_f32 v29, v29, v35, v30
	s_mov_b64 vcc, s[2:3]
	v_fma_f32 v30, -v14, v31, 1.0
	v_fmac_f32_e32 v31, v30, v31
	v_mul_f32_e32 v30, v32, v31
	v_fma_f32 v33, -v14, v30, v32
	v_fmac_f32_e32 v30, v33, v31
	v_fma_f32 v14, -v14, v30, v32
	v_div_fmas_f32 v14, v14, v31, v30
	s_waitcnt lgkmcnt(0)
	v_add_f32_e32 v8, v11, v8
	v_div_fixup_f32 v11, v17, v22, v27
	v_add_f32_e32 v10, v10, v12
	v_div_fixup_f32 v12, v21, v15, v26
	;; [unrolled: 2-line block ×4, first 2 shown]
	v_div_fixup_f32 v13, v24, v18, v23
	v_add_f32_e32 v10, v10, v12
	v_div_fixup_f32 v12, v25, v18, v28
	v_add_f32_e32 v8, v11, v8
	v_add_f32_e32 v4, v4, v19
	v_add_f32_e32 v9, v9, v13
	v_add_f32_e32 v10, v12, v10
	v_div_fixup_f32 v1, v14, v18, v1
	v_add_f32_e32 v11, v1, v8
	v_mov_b32_e32 v1, v18
.LBB4_19:
	s_or_b64 exec, exec, s[4:5]
	v_cmp_gt_u32_e32 vcc, 48, v6
	s_waitcnt lgkmcnt(0)
	v_cndmask_b32_e64 v8, 0, 16, vcc
	v_add_lshl_u32 v8, v8, v5, 2
	ds_bpermute_b32 v14, v8, v1
	ds_bpermute_b32 v16, v8, v2
	;; [unrolled: 1-line block ×7, first 2 shown]
	v_add_u32_e32 v18, 16, v6
	v_cmp_lt_u32_e32 vcc, v18, v7
	s_and_saveexec_b64 s[4:5], vcc
	s_cbranch_execz .LBB4_21
; %bb.20:
	s_waitcnt lgkmcnt(3)
	v_sub_f32_e32 v17, v17, v4
	v_add_f32_e32 v18, v1, v14
	v_mul_f32_e32 v19, v17, v14
	v_div_scale_f32 v20, s[0:1], v18, v18, v19
	v_cmp_gt_f32_e64 s[0:1], v2, v16
	v_cndmask_b32_e64 v2, v2, v16, s[0:1]
	v_mul_f32_e32 v16, v17, v17
	v_div_scale_f32 v21, vcc, v19, v18, v19
	v_mul_f32_e32 v23, v1, v16
	v_cmp_lt_f32_e64 s[0:1], v3, v15
	v_mul_f32_e32 v23, v23, v14
	v_cndmask_b32_e64 v3, v3, v15, s[0:1]
	v_div_scale_f32 v25, s[0:1], v18, v18, v23
	v_div_scale_f32 v30, s[0:1], v23, v18, v23
	v_mul_f32_e32 v26, v17, v16
	v_rcp_f32_e32 v24, v20
	v_mul_f32_e32 v27, v17, v26
	v_mul_f32_e32 v26, v1, v26
	;; [unrolled: 1-line block ×3, first 2 shown]
	v_fma_f32 v28, -v20, v24, 1.0
	v_fmac_f32_e32 v24, v28, v24
	v_mul_f32_e32 v28, v21, v24
	v_fma_f32 v29, -v20, v28, v21
	v_fmac_f32_e32 v28, v29, v24
	v_sub_f32_e32 v31, v1, v14
	v_mul_f32_e32 v15, v18, v18
	v_rcp_f32_e32 v29, v25
	v_mul_f32_e32 v26, v31, v26
	v_fma_f32 v20, -v20, v28, v21
	v_div_scale_f32 v31, s[2:3], v15, v15, v26
	v_fma_f32 v21, -v25, v29, 1.0
	v_fmac_f32_e32 v29, v21, v29
	v_div_fmas_f32 v20, v20, v24, v28
	v_mul_f32_e32 v24, v30, v29
	v_fma_f32 v28, -v25, v24, v30
	v_fmac_f32_e32 v24, v28, v29
	v_fma_f32 v25, -v25, v24, v30
	s_mov_b64 vcc, s[0:1]
	v_div_fmas_f32 v24, v25, v29, v24
	v_mul_f32_e32 v29, v9, v14
	v_div_scale_f32 v21, s[2:3], v26, v15, v26
	v_mul_f32_e32 v28, 0x40400000, v17
	s_waitcnt lgkmcnt(2)
	v_fma_f32 v29, v1, v13, -v29
	v_mul_f32_e32 v28, v28, v29
	v_div_scale_f32 v29, s[0:1], v18, v18, v28
	v_div_scale_f32 v32, s[0:1], v28, v18, v28
	v_rcp_f32_e32 v25, v31
	v_mul_f32_e32 v33, v1, v1
	v_mul_f32_e32 v27, v1, v27
	v_fma_f32 v34, -v1, v14, v33
	v_fma_f32 v30, -v31, v25, 1.0
	v_fmac_f32_e32 v25, v30, v25
	v_mul_f32_e32 v27, v27, v14
	v_mul_f32_e32 v30, v21, v25
	v_fma_f32 v35, -v31, v30, v21
	v_fmac_f32_e32 v30, v35, v25
	v_fmac_f32_e32 v34, v14, v14
	v_mul_f32_e32 v22, v18, v15
	v_rcp_f32_e32 v35, v29
	v_mul_f32_e32 v27, v34, v27
	v_fma_f32 v21, -v31, v30, v21
	s_mov_b64 vcc, s[2:3]
	v_div_scale_f32 v34, s[8:9], v22, v22, v27
	v_div_fmas_f32 v21, v21, v25, v30
	v_fma_f32 v25, -v29, v35, 1.0
	v_fmac_f32_e32 v35, v25, v35
	v_mul_f32_e32 v25, v32, v35
	v_fma_f32 v30, -v29, v25, v32
	v_fmac_f32_e32 v25, v30, v35
	v_fma_f32 v29, -v29, v25, v32
	s_mov_b64 vcc, s[0:1]
	v_div_fmas_f32 v25, v29, v35, v25
	v_div_scale_f32 v31, vcc, v27, v22, v27
	v_mul_f32_e32 v29, v14, v14
	v_mul_f32_e32 v32, v33, v13
	;; [unrolled: 1-line block ×3, first 2 shown]
	v_fmac_f32_e32 v32, v9, v29
	v_mul_f32_e32 v16, v16, v32
	v_div_scale_f32 v29, s[0:1], v15, v15, v16
	v_mul_f32_e32 v14, v10, v14
	v_rcp_f32_e32 v30, v34
	v_div_scale_f32 v33, s[0:1], v16, v15, v16
	v_mul_f32_e32 v17, 4.0, v17
	s_waitcnt lgkmcnt(1)
	v_fma_f32 v1, v1, v12, -v14
	v_mul_f32_e32 v1, v17, v1
	v_div_scale_f32 v14, s[2:3], v18, v18, v1
	v_fma_f32 v32, -v34, v30, 1.0
	v_fmac_f32_e32 v30, v32, v30
	v_mul_f32_e32 v17, v31, v30
	v_fma_f32 v32, -v34, v17, v31
	v_fmac_f32_e32 v17, v32, v30
	v_div_scale_f32 v32, s[2:3], v1, v18, v1
	v_rcp_f32_e32 v35, v29
	v_fma_f32 v31, -v34, v17, v31
	v_div_fmas_f32 v17, v31, v30, v17
	s_mov_b64 vcc, s[0:1]
	v_fma_f32 v30, -v29, v35, 1.0
	v_fmac_f32_e32 v35, v30, v35
	v_mul_f32_e32 v30, v33, v35
	v_fma_f32 v31, -v29, v30, v33
	v_fmac_f32_e32 v30, v31, v35
	v_rcp_f32_e32 v31, v14
	v_fma_f32 v29, -v29, v30, v33
	v_div_fmas_f32 v29, v29, v35, v30
	s_mov_b64 vcc, s[2:3]
	v_fma_f32 v30, -v14, v31, 1.0
	v_fmac_f32_e32 v31, v30, v31
	v_mul_f32_e32 v30, v32, v31
	v_fma_f32 v33, -v14, v30, v32
	v_fmac_f32_e32 v30, v33, v31
	v_fma_f32 v14, -v14, v30, v32
	v_div_fmas_f32 v14, v14, v31, v30
	s_waitcnt lgkmcnt(0)
	v_add_f32_e32 v8, v11, v8
	v_div_fixup_f32 v11, v17, v22, v27
	v_add_f32_e32 v10, v10, v12
	v_div_fixup_f32 v12, v21, v15, v26
	;; [unrolled: 2-line block ×4, first 2 shown]
	v_div_fixup_f32 v13, v24, v18, v23
	v_add_f32_e32 v10, v10, v12
	v_div_fixup_f32 v12, v25, v18, v28
	v_add_f32_e32 v8, v11, v8
	v_add_f32_e32 v4, v4, v19
	;; [unrolled: 1-line block ×4, first 2 shown]
	v_div_fixup_f32 v1, v14, v18, v1
	v_add_f32_e32 v11, v1, v8
	v_mov_b32_e32 v1, v18
.LBB4_21:
	s_or_b64 exec, exec, s[4:5]
	s_waitcnt lgkmcnt(0)
	v_lshlrev_b32_e32 v8, 2, v5
	v_or_b32_e32 v12, 0x80, v8
	ds_bpermute_b32 v15, v12, v1
	ds_bpermute_b32 v17, v12, v2
	;; [unrolled: 1-line block ×7, first 2 shown]
	v_add_u32_e32 v6, 32, v6
	v_cmp_lt_u32_e32 vcc, v6, v7
	s_and_saveexec_b64 s[4:5], vcc
	s_cbranch_execz .LBB4_23
; %bb.22:
	s_waitcnt lgkmcnt(3)
	v_sub_f32_e32 v7, v18, v4
	v_add_f32_e32 v6, v1, v15
	v_mul_f32_e32 v18, v7, v15
	v_div_scale_f32 v19, s[0:1], v6, v6, v18
	v_cmp_gt_f32_e64 s[0:1], v2, v17
	v_cndmask_b32_e64 v2, v2, v17, s[0:1]
	v_mul_f32_e32 v17, v7, v7
	v_div_scale_f32 v20, vcc, v18, v6, v18
	v_mul_f32_e32 v22, v1, v17
	v_cmp_lt_f32_e64 s[0:1], v3, v16
	v_mul_f32_e32 v22, v22, v15
	v_cndmask_b32_e64 v3, v3, v16, s[0:1]
	v_div_scale_f32 v24, s[0:1], v6, v6, v22
	v_div_scale_f32 v29, s[0:1], v22, v6, v22
	v_mul_f32_e32 v25, v7, v17
	v_rcp_f32_e32 v23, v19
	v_mul_f32_e32 v26, v7, v25
	v_mul_f32_e32 v25, v1, v25
	;; [unrolled: 1-line block ×3, first 2 shown]
	v_fma_f32 v27, -v19, v23, 1.0
	v_fmac_f32_e32 v23, v27, v23
	v_mul_f32_e32 v27, v20, v23
	v_fma_f32 v28, -v19, v27, v20
	v_fmac_f32_e32 v27, v28, v23
	v_sub_f32_e32 v30, v1, v15
	v_mul_f32_e32 v16, v6, v6
	v_rcp_f32_e32 v28, v24
	v_mul_f32_e32 v25, v30, v25
	v_fma_f32 v19, -v19, v27, v20
	v_div_scale_f32 v30, s[2:3], v16, v16, v25
	v_fma_f32 v20, -v24, v28, 1.0
	v_fmac_f32_e32 v28, v20, v28
	v_div_fmas_f32 v19, v19, v23, v27
	v_mul_f32_e32 v23, v29, v28
	v_fma_f32 v27, -v24, v23, v29
	v_fmac_f32_e32 v23, v27, v28
	v_fma_f32 v24, -v24, v23, v29
	s_mov_b64 vcc, s[0:1]
	v_div_fmas_f32 v23, v24, v28, v23
	v_mul_f32_e32 v28, v9, v15
	v_div_scale_f32 v20, s[2:3], v25, v16, v25
	v_mul_f32_e32 v27, 0x40400000, v7
	s_waitcnt lgkmcnt(2)
	v_fma_f32 v28, v1, v14, -v28
	v_mul_f32_e32 v27, v27, v28
	v_div_scale_f32 v28, s[0:1], v6, v6, v27
	v_div_scale_f32 v31, s[0:1], v27, v6, v27
	v_rcp_f32_e32 v24, v30
	v_mul_f32_e32 v32, v1, v1
	v_mul_f32_e32 v26, v1, v26
	v_fma_f32 v33, -v1, v15, v32
	v_fma_f32 v29, -v30, v24, 1.0
	v_fmac_f32_e32 v24, v29, v24
	v_mul_f32_e32 v26, v26, v15
	v_mul_f32_e32 v29, v20, v24
	v_fma_f32 v34, -v30, v29, v20
	v_fmac_f32_e32 v29, v34, v24
	v_fmac_f32_e32 v33, v15, v15
	v_mul_f32_e32 v21, v6, v16
	v_rcp_f32_e32 v34, v28
	v_mul_f32_e32 v26, v33, v26
	v_fma_f32 v20, -v30, v29, v20
	s_mov_b64 vcc, s[2:3]
	v_div_scale_f32 v33, s[8:9], v21, v21, v26
	v_div_fmas_f32 v20, v20, v24, v29
	v_fma_f32 v24, -v28, v34, 1.0
	v_fmac_f32_e32 v34, v24, v34
	v_mul_f32_e32 v24, v31, v34
	v_fma_f32 v29, -v28, v24, v31
	v_fmac_f32_e32 v24, v29, v34
	v_fma_f32 v28, -v28, v24, v31
	s_mov_b64 vcc, s[0:1]
	v_div_fmas_f32 v24, v28, v34, v24
	v_div_scale_f32 v30, vcc, v26, v21, v26
	v_mul_f32_e32 v28, v15, v15
	v_mul_f32_e32 v31, v32, v14
	;; [unrolled: 1-line block ×3, first 2 shown]
	v_fmac_f32_e32 v31, v9, v28
	v_mul_f32_e32 v17, v17, v31
	v_div_scale_f32 v28, s[0:1], v16, v16, v17
	v_mul_f32_e32 v15, v10, v15
	v_rcp_f32_e32 v29, v33
	v_div_scale_f32 v32, s[0:1], v17, v16, v17
	v_mul_f32_e32 v7, 4.0, v7
	s_waitcnt lgkmcnt(1)
	v_fma_f32 v1, v1, v13, -v15
	v_mul_f32_e32 v1, v7, v1
	v_div_scale_f32 v7, s[2:3], v6, v6, v1
	v_fma_f32 v31, -v33, v29, 1.0
	v_fmac_f32_e32 v29, v31, v29
	v_mul_f32_e32 v15, v30, v29
	v_fma_f32 v31, -v33, v15, v30
	v_fmac_f32_e32 v15, v31, v29
	v_div_scale_f32 v31, s[2:3], v1, v6, v1
	v_rcp_f32_e32 v34, v28
	v_fma_f32 v30, -v33, v15, v30
	v_div_fmas_f32 v15, v30, v29, v15
	s_mov_b64 vcc, s[0:1]
	v_fma_f32 v29, -v28, v34, 1.0
	v_fmac_f32_e32 v34, v29, v34
	v_mul_f32_e32 v29, v32, v34
	v_fma_f32 v30, -v28, v29, v32
	v_fmac_f32_e32 v29, v30, v34
	v_rcp_f32_e32 v30, v7
	v_fma_f32 v28, -v28, v29, v32
	v_div_fmas_f32 v28, v28, v34, v29
	s_mov_b64 vcc, s[2:3]
	v_fma_f32 v29, -v7, v30, 1.0
	v_fmac_f32_e32 v30, v29, v30
	v_mul_f32_e32 v29, v31, v30
	v_fma_f32 v32, -v7, v29, v31
	v_fmac_f32_e32 v29, v32, v30
	v_fma_f32 v7, -v7, v29, v31
	v_div_fmas_f32 v7, v7, v30, v29
	s_waitcnt lgkmcnt(0)
	v_add_f32_e32 v11, v11, v12
	v_div_fixup_f32 v12, v15, v21, v26
	v_add_f32_e32 v10, v10, v13
	v_div_fixup_f32 v13, v20, v16, v25
	;; [unrolled: 2-line block ×4, first 2 shown]
	v_div_fixup_f32 v14, v23, v6, v22
	v_add_f32_e32 v10, v10, v13
	v_div_fixup_f32 v13, v24, v6, v27
	v_add_f32_e32 v11, v12, v11
	v_add_f32_e32 v4, v4, v18
	;; [unrolled: 1-line block ×4, first 2 shown]
	v_div_fixup_f32 v1, v7, v6, v1
	v_add_f32_e32 v11, v1, v11
	v_mov_b32_e32 v1, v6
.LBB4_23:
	s_or_b64 exec, exec, s[4:5]
	v_cmp_eq_u32_e32 vcc, 0, v5
	s_and_saveexec_b64 s[0:1], vcc
	s_cbranch_execz .LBB4_25
; %bb.24:
	v_lshrrev_b32_e32 v6, 6, v0
	v_mul_u32_u24_e32 v6, 28, v6
	ds_write2_b32 v6, v1, v2 offset1:1
	ds_write2_b32 v6, v3, v4 offset0:2 offset1:3
	ds_write2_b32 v6, v9, v10 offset0:4 offset1:5
	ds_write_b32 v6, v11 offset:24
.LBB4_25:
	s_or_b64 exec, exec, s[0:1]
	v_cmp_gt_u32_e32 vcc, 4, v0
	s_waitcnt lgkmcnt(0)
	s_barrier
	s_and_saveexec_b64 s[4:5], vcc
	s_cbranch_execz .LBB4_31
; %bb.26:
	v_mul_u32_u24_e32 v6, 28, v5
	ds_read2_b32 v[1:2], v6 offset1:1
	ds_read2_b32 v[3:4], v6 offset0:2 offset1:3
	ds_read2_b32 v[9:10], v6 offset0:4 offset1:5
	ds_read_b32 v11, v6 offset:24
	v_and_b32_e32 v6, 3, v5
	v_cmp_ne_u32_e32 vcc, 3, v6
	v_addc_co_u32_e32 v5, vcc, 0, v5, vcc
	v_lshlrev_b32_e32 v5, 2, v5
	s_waitcnt lgkmcnt(3)
	ds_bpermute_b32 v14, v5, v1
	ds_bpermute_b32 v18, v5, v2
	s_waitcnt lgkmcnt(4)
	ds_bpermute_b32 v17, v5, v3
	ds_bpermute_b32 v19, v5, v4
	;; [unrolled: 3-line block ×3, first 2 shown]
	s_waitcnt lgkmcnt(6)
	ds_bpermute_b32 v7, v5, v11
	s_add_i32 s7, s7, 63
	s_lshr_b32 s7, s7, 6
	v_add_u32_e32 v15, 1, v6
	v_cmp_gt_u32_e32 vcc, s7, v15
	v_mov_b32_e32 v16, v10
	v_mov_b32_e32 v15, v9
	;; [unrolled: 1-line block ×3, first 2 shown]
	s_and_saveexec_b64 s[8:9], vcc
	s_cbranch_execz .LBB4_28
; %bb.27:
	s_waitcnt lgkmcnt(3)
	v_sub_f32_e32 v15, v19, v4
	v_add_f32_e32 v5, v1, v14
	v_mul_f32_e32 v16, v15, v14
	v_div_scale_f32 v19, s[0:1], v5, v5, v16
	v_cmp_gt_f32_e64 s[0:1], v2, v18
	v_cndmask_b32_e64 v2, v2, v18, s[0:1]
	v_mul_f32_e32 v18, v15, v15
	v_div_scale_f32 v20, vcc, v16, v5, v16
	v_mul_f32_e32 v22, v1, v18
	v_cmp_lt_f32_e64 s[0:1], v3, v17
	v_mul_f32_e32 v22, v22, v14
	v_cndmask_b32_e64 v3, v3, v17, s[0:1]
	v_div_scale_f32 v24, s[0:1], v5, v5, v22
	v_div_scale_f32 v29, s[0:1], v22, v5, v22
	v_mul_f32_e32 v25, v15, v18
	v_rcp_f32_e32 v23, v19
	v_mul_f32_e32 v26, v15, v25
	v_mul_f32_e32 v25, v1, v25
	v_mul_f32_e32 v25, v25, v14
	v_fma_f32 v27, -v19, v23, 1.0
	v_fmac_f32_e32 v23, v27, v23
	v_mul_f32_e32 v27, v20, v23
	v_fma_f32 v28, -v19, v27, v20
	v_fmac_f32_e32 v27, v28, v23
	v_sub_f32_e32 v30, v1, v14
	v_mul_f32_e32 v17, v5, v5
	v_rcp_f32_e32 v28, v24
	v_mul_f32_e32 v25, v30, v25
	v_fma_f32 v19, -v19, v27, v20
	v_div_scale_f32 v30, s[2:3], v17, v17, v25
	v_fma_f32 v20, -v24, v28, 1.0
	v_fmac_f32_e32 v28, v20, v28
	v_div_fmas_f32 v19, v19, v23, v27
	v_mul_f32_e32 v23, v29, v28
	v_fma_f32 v27, -v24, v23, v29
	v_fmac_f32_e32 v23, v27, v28
	v_fma_f32 v24, -v24, v23, v29
	s_mov_b64 vcc, s[0:1]
	v_div_fmas_f32 v23, v24, v28, v23
	v_mul_f32_e32 v28, v9, v14
	v_div_scale_f32 v20, s[2:3], v25, v17, v25
	v_mul_f32_e32 v27, 0x40400000, v15
	s_waitcnt lgkmcnt(2)
	v_fma_f32 v28, v1, v13, -v28
	v_mul_f32_e32 v27, v27, v28
	v_div_scale_f32 v28, s[0:1], v5, v5, v27
	v_div_scale_f32 v31, s[0:1], v27, v5, v27
	v_rcp_f32_e32 v24, v30
	v_mul_f32_e32 v32, v1, v1
	v_mul_f32_e32 v26, v1, v26
	v_fma_f32 v33, -v1, v14, v32
	v_fma_f32 v29, -v30, v24, 1.0
	v_fmac_f32_e32 v24, v29, v24
	v_mul_f32_e32 v26, v26, v14
	v_mul_f32_e32 v29, v20, v24
	v_fma_f32 v34, -v30, v29, v20
	v_fmac_f32_e32 v29, v34, v24
	v_fmac_f32_e32 v33, v14, v14
	v_mul_f32_e32 v21, v5, v17
	v_rcp_f32_e32 v34, v28
	v_mul_f32_e32 v26, v33, v26
	v_fma_f32 v20, -v30, v29, v20
	s_mov_b64 vcc, s[2:3]
	v_div_scale_f32 v33, s[10:11], v21, v21, v26
	v_div_fmas_f32 v20, v20, v24, v29
	v_fma_f32 v24, -v28, v34, 1.0
	v_fmac_f32_e32 v34, v24, v34
	v_mul_f32_e32 v24, v31, v34
	v_fma_f32 v29, -v28, v24, v31
	v_fmac_f32_e32 v24, v29, v34
	v_fma_f32 v28, -v28, v24, v31
	s_mov_b64 vcc, s[0:1]
	v_div_fmas_f32 v24, v28, v34, v24
	v_div_scale_f32 v30, vcc, v26, v21, v26
	v_mul_f32_e32 v28, v14, v14
	v_mul_f32_e32 v31, v32, v13
	;; [unrolled: 1-line block ×3, first 2 shown]
	v_fmac_f32_e32 v31, v9, v28
	v_mul_f32_e32 v18, v18, v31
	v_div_scale_f32 v28, s[0:1], v17, v17, v18
	v_mul_f32_e32 v14, v10, v14
	v_rcp_f32_e32 v29, v33
	v_div_scale_f32 v32, s[0:1], v18, v17, v18
	v_mul_f32_e32 v15, 4.0, v15
	s_waitcnt lgkmcnt(1)
	v_fma_f32 v1, v1, v12, -v14
	v_mul_f32_e32 v1, v15, v1
	v_div_scale_f32 v14, s[2:3], v5, v5, v1
	v_fma_f32 v31, -v33, v29, 1.0
	v_fmac_f32_e32 v29, v31, v29
	v_mul_f32_e32 v15, v30, v29
	v_fma_f32 v31, -v33, v15, v30
	v_fmac_f32_e32 v15, v31, v29
	v_div_scale_f32 v31, s[2:3], v1, v5, v1
	v_rcp_f32_e32 v34, v28
	v_fma_f32 v30, -v33, v15, v30
	v_div_fmas_f32 v29, v30, v29, v15
	s_mov_b64 vcc, s[0:1]
	v_fma_f32 v15, -v28, v34, 1.0
	v_fmac_f32_e32 v34, v15, v34
	v_mul_f32_e32 v15, v32, v34
	v_fma_f32 v30, -v28, v15, v32
	v_fmac_f32_e32 v15, v30, v34
	v_rcp_f32_e32 v30, v14
	v_fma_f32 v28, -v28, v15, v32
	v_div_fmas_f32 v28, v28, v34, v15
	s_mov_b64 vcc, s[2:3]
	v_fma_f32 v15, -v14, v30, 1.0
	v_fmac_f32_e32 v30, v15, v30
	v_mul_f32_e32 v15, v31, v30
	v_fma_f32 v32, -v14, v15, v31
	v_fmac_f32_e32 v15, v32, v30
	v_fma_f32 v14, -v14, v15, v31
	v_div_fmas_f32 v14, v14, v30, v15
	v_div_fixup_f32 v15, v19, v5, v16
	v_add_f32_e32 v9, v9, v13
	v_div_fixup_f32 v13, v23, v5, v22
	v_add_f32_e32 v4, v4, v15
	v_add_f32_e32 v15, v9, v13
	;; [unrolled: 1-line block ×3, first 2 shown]
	v_div_fixup_f32 v10, v20, v17, v25
	v_add_f32_e32 v9, v9, v10
	v_div_fixup_f32 v10, v24, v5, v27
	v_add_f32_e32 v16, v10, v9
	s_waitcnt lgkmcnt(0)
	v_add_f32_e32 v7, v11, v7
	v_div_fixup_f32 v9, v29, v21, v26
	v_add_f32_e32 v7, v7, v9
	v_div_fixup_f32 v9, v28, v17, v18
	;; [unrolled: 2-line block ×3, first 2 shown]
	v_add_f32_e32 v11, v1, v7
	v_mov_b32_e32 v10, v16
	v_mov_b32_e32 v9, v15
	;; [unrolled: 1-line block ×3, first 2 shown]
.LBB4_28:
	s_or_b64 exec, exec, s[8:9]
	s_waitcnt lgkmcnt(5)
	v_or_b32_e32 v18, 8, v8
	s_waitcnt lgkmcnt(1)
	ds_bpermute_b32 v12, v18, v5
	ds_bpermute_b32 v14, v18, v2
	;; [unrolled: 1-line block ×5, first 2 shown]
	s_waitcnt lgkmcnt(5)
	ds_bpermute_b32 v7, v18, v16
	ds_bpermute_b32 v5, v18, v11
	v_add_u32_e32 v6, 2, v6
	v_cmp_gt_u32_e32 vcc, s7, v6
	s_and_saveexec_b64 s[8:9], vcc
	s_cbranch_execz .LBB4_30
; %bb.29:
	s_waitcnt lgkmcnt(3)
	v_sub_f32_e32 v15, v17, v4
	v_add_f32_e32 v6, v1, v12
	v_mul_f32_e32 v16, v15, v12
	v_div_scale_f32 v17, s[0:1], v6, v6, v16
	v_cmp_gt_f32_e64 s[0:1], v2, v14
	v_cndmask_b32_e64 v2, v2, v14, s[0:1]
	v_mul_f32_e32 v14, v15, v15
	v_div_scale_f32 v18, vcc, v16, v6, v16
	v_mul_f32_e32 v20, v1, v14
	v_cmp_lt_f32_e64 s[0:1], v3, v13
	v_mul_f32_e32 v20, v20, v12
	v_cndmask_b32_e64 v3, v3, v13, s[0:1]
	v_div_scale_f32 v22, s[0:1], v6, v6, v20
	v_div_scale_f32 v27, s[0:1], v20, v6, v20
	v_mul_f32_e32 v23, v15, v14
	v_rcp_f32_e32 v21, v17
	v_mul_f32_e32 v24, v15, v23
	v_mul_f32_e32 v23, v1, v23
	;; [unrolled: 1-line block ×3, first 2 shown]
	v_fma_f32 v25, -v17, v21, 1.0
	v_fmac_f32_e32 v21, v25, v21
	v_mul_f32_e32 v25, v18, v21
	v_fma_f32 v26, -v17, v25, v18
	v_fmac_f32_e32 v25, v26, v21
	v_sub_f32_e32 v28, v1, v12
	v_mul_f32_e32 v13, v6, v6
	v_rcp_f32_e32 v26, v22
	v_mul_f32_e32 v23, v28, v23
	v_fma_f32 v17, -v17, v25, v18
	v_div_scale_f32 v28, s[2:3], v13, v13, v23
	v_fma_f32 v18, -v22, v26, 1.0
	v_fmac_f32_e32 v26, v18, v26
	v_div_fmas_f32 v17, v17, v21, v25
	v_mul_f32_e32 v21, v27, v26
	v_fma_f32 v25, -v22, v21, v27
	v_fmac_f32_e32 v21, v25, v26
	v_fma_f32 v22, -v22, v21, v27
	s_mov_b64 vcc, s[0:1]
	v_div_fmas_f32 v21, v22, v26, v21
	v_mul_f32_e32 v26, v9, v12
	v_div_scale_f32 v18, s[2:3], v23, v13, v23
	v_mul_f32_e32 v25, 0x40400000, v15
	s_waitcnt lgkmcnt(2)
	v_fma_f32 v26, v1, v8, -v26
	v_mul_f32_e32 v25, v25, v26
	v_div_scale_f32 v26, s[0:1], v6, v6, v25
	v_div_scale_f32 v29, s[0:1], v25, v6, v25
	v_rcp_f32_e32 v22, v28
	v_mul_f32_e32 v30, v1, v1
	v_mul_f32_e32 v24, v1, v24
	v_fma_f32 v31, -v1, v12, v30
	v_fma_f32 v27, -v28, v22, 1.0
	v_fmac_f32_e32 v22, v27, v22
	v_mul_f32_e32 v24, v24, v12
	v_mul_f32_e32 v27, v18, v22
	v_fma_f32 v32, -v28, v27, v18
	v_fmac_f32_e32 v27, v32, v22
	v_fmac_f32_e32 v31, v12, v12
	v_mul_f32_e32 v19, v6, v13
	v_rcp_f32_e32 v32, v26
	v_mul_f32_e32 v24, v31, v24
	v_fma_f32 v18, -v28, v27, v18
	s_mov_b64 vcc, s[2:3]
	v_div_scale_f32 v31, s[10:11], v19, v19, v24
	v_div_fmas_f32 v18, v18, v22, v27
	v_fma_f32 v22, -v26, v32, 1.0
	v_fmac_f32_e32 v32, v22, v32
	v_mul_f32_e32 v22, v29, v32
	v_fma_f32 v27, -v26, v22, v29
	v_fmac_f32_e32 v22, v27, v32
	v_fma_f32 v26, -v26, v22, v29
	s_mov_b64 vcc, s[0:1]
	v_div_fmas_f32 v22, v26, v32, v22
	v_div_scale_f32 v28, vcc, v24, v19, v24
	v_mul_f32_e32 v26, v12, v12
	v_mul_f32_e32 v29, v30, v8
	;; [unrolled: 1-line block ×3, first 2 shown]
	v_fmac_f32_e32 v29, v9, v26
	v_mul_f32_e32 v14, v14, v29
	v_div_scale_f32 v26, s[0:1], v13, v13, v14
	v_mul_f32_e32 v12, v10, v12
	v_rcp_f32_e32 v27, v31
	v_div_scale_f32 v30, s[0:1], v14, v13, v14
	v_mul_f32_e32 v15, 4.0, v15
	s_waitcnt lgkmcnt(1)
	v_fma_f32 v1, v1, v7, -v12
	v_mul_f32_e32 v1, v15, v1
	v_div_scale_f32 v12, s[2:3], v6, v6, v1
	v_fma_f32 v29, -v31, v27, 1.0
	v_fmac_f32_e32 v27, v29, v27
	v_mul_f32_e32 v15, v28, v27
	v_fma_f32 v29, -v31, v15, v28
	v_fmac_f32_e32 v15, v29, v27
	v_div_scale_f32 v29, s[2:3], v1, v6, v1
	v_rcp_f32_e32 v32, v26
	v_fma_f32 v28, -v31, v15, v28
	v_div_fmas_f32 v15, v28, v27, v15
	s_mov_b64 vcc, s[0:1]
	v_fma_f32 v27, -v26, v32, 1.0
	v_fmac_f32_e32 v32, v27, v32
	v_mul_f32_e32 v27, v30, v32
	v_fma_f32 v28, -v26, v27, v30
	v_fmac_f32_e32 v27, v28, v32
	v_rcp_f32_e32 v28, v12
	v_fma_f32 v26, -v26, v27, v30
	v_div_fmas_f32 v26, v26, v32, v27
	s_mov_b64 vcc, s[2:3]
	v_fma_f32 v27, -v12, v28, 1.0
	v_fmac_f32_e32 v28, v27, v28
	v_mul_f32_e32 v27, v29, v28
	v_fma_f32 v30, -v12, v27, v29
	v_fmac_f32_e32 v27, v30, v28
	v_fma_f32 v12, -v12, v27, v29
	v_div_fmas_f32 v12, v12, v28, v27
	v_add_f32_e32 v8, v9, v8
	v_div_fixup_f32 v9, v21, v6, v20
	v_add_f32_e32 v8, v8, v9
	v_add_f32_e32 v7, v10, v7
	v_div_fixup_f32 v9, v18, v13, v23
	v_add_f32_e32 v7, v7, v9
	v_div_fixup_f32 v9, v22, v6, v25
	v_add_f32_e32 v10, v9, v7
	s_waitcnt lgkmcnt(0)
	v_add_f32_e32 v5, v11, v5
	v_div_fixup_f32 v9, v15, v19, v24
	v_add_f32_e32 v5, v5, v9
	v_div_fixup_f32 v9, v26, v13, v14
	v_div_fixup_f32 v16, v17, v6, v16
	v_add_f32_e32 v5, v9, v5
	v_add_f32_e32 v4, v4, v16
	v_div_fixup_f32 v1, v12, v6, v1
	v_add_f32_e32 v11, v1, v5
	v_mov_b32_e32 v1, v6
	v_mov_b32_e32 v9, v8
.LBB4_30:
	s_or_b64 exec, exec, s[8:9]
.LBB4_31:
	s_or_b64 exec, exec, s[4:5]
.LBB4_32:
	v_cmp_eq_u32_e32 vcc, 0, v0
	s_and_saveexec_b64 s[0:1], vcc
	s_cbranch_execnz .LBB4_34
; %bb.33:
	s_endpgm
.LBB4_34:
	s_cmp_eq_u64 s[12:13], 0
	s_waitcnt lgkmcnt(0)
	v_mov_b32_e32 v5, s20
	v_mov_b32_e32 v6, s21
	;; [unrolled: 1-line block ×7, first 2 shown]
	s_cbranch_scc1 .LBB4_36
; %bb.35:
	v_mov_b32_e32 v5, v1
	v_mov_b32_e32 v6, v2
	;; [unrolled: 1-line block ×7, first 2 shown]
.LBB4_36:
	s_mul_i32 s0, s18, s17
	s_mul_hi_u32 s1, s18, s16
	s_add_i32 s0, s1, s0
	s_mul_i32 s1, s19, s16
	s_add_i32 s0, s0, s1
	s_mul_i32 s1, s18, s16
	s_mul_i32 s0, s0, 28
	s_mul_hi_u32 s2, s1, 28
	s_add_i32 s2, s2, s0
	s_mul_i32 s1, s1, 28
	s_add_u32 s0, s14, s1
	s_addc_u32 s1, s15, s2
	s_mul_i32 s3, s6, 28
	s_mul_hi_u32 s2, s6, 28
	s_add_u32 s0, s0, s3
	s_addc_u32 s1, s1, s2
	v_mov_b32_e32 v0, 0
	global_store_dwordx4 v0, v[5:8], s[0:1]
	global_store_dwordx3 v0, v[12:14], s[0:1] offset:16
	s_endpgm
	.section	.rodata,"a",@progbits
	.p2align	6, 0x0
	.amdhsa_kernel _ZN7rocprim17ROCPRIM_400000_NS6detail17trampoline_kernelINS0_14default_configENS1_22reduce_config_selectorI18summary_stats_dataIfEEEZNS1_11reduce_implILb1ES3_PS6_S9_S6_23summary_stats_binary_opIfEEE10hipError_tPvRmT1_T2_T3_mT4_P12ihipStream_tbEUlT_E0_NS1_11comp_targetILNS1_3genE2ELNS1_11target_archE906ELNS1_3gpuE6ELNS1_3repE0EEENS1_30default_config_static_selectorELNS0_4arch9wavefront6targetE1EEEvSF_
		.amdhsa_group_segment_fixed_size 224
		.amdhsa_private_segment_fixed_size 0
		.amdhsa_kernarg_size 80
		.amdhsa_user_sgpr_count 6
		.amdhsa_user_sgpr_private_segment_buffer 1
		.amdhsa_user_sgpr_dispatch_ptr 0
		.amdhsa_user_sgpr_queue_ptr 0
		.amdhsa_user_sgpr_kernarg_segment_ptr 1
		.amdhsa_user_sgpr_dispatch_id 0
		.amdhsa_user_sgpr_flat_scratch_init 0
		.amdhsa_user_sgpr_private_segment_size 0
		.amdhsa_uses_dynamic_stack 0
		.amdhsa_system_sgpr_private_segment_wavefront_offset 0
		.amdhsa_system_sgpr_workgroup_id_x 1
		.amdhsa_system_sgpr_workgroup_id_y 0
		.amdhsa_system_sgpr_workgroup_id_z 0
		.amdhsa_system_sgpr_workgroup_info 0
		.amdhsa_system_vgpr_workitem_id 0
		.amdhsa_next_free_vgpr 38
		.amdhsa_next_free_sgpr 32
		.amdhsa_reserve_vcc 1
		.amdhsa_reserve_flat_scratch 0
		.amdhsa_float_round_mode_32 0
		.amdhsa_float_round_mode_16_64 0
		.amdhsa_float_denorm_mode_32 3
		.amdhsa_float_denorm_mode_16_64 3
		.amdhsa_dx10_clamp 1
		.amdhsa_ieee_mode 1
		.amdhsa_fp16_overflow 0
		.amdhsa_exception_fp_ieee_invalid_op 0
		.amdhsa_exception_fp_denorm_src 0
		.amdhsa_exception_fp_ieee_div_zero 0
		.amdhsa_exception_fp_ieee_overflow 0
		.amdhsa_exception_fp_ieee_underflow 0
		.amdhsa_exception_fp_ieee_inexact 0
		.amdhsa_exception_int_div_zero 0
	.end_amdhsa_kernel
	.section	.text._ZN7rocprim17ROCPRIM_400000_NS6detail17trampoline_kernelINS0_14default_configENS1_22reduce_config_selectorI18summary_stats_dataIfEEEZNS1_11reduce_implILb1ES3_PS6_S9_S6_23summary_stats_binary_opIfEEE10hipError_tPvRmT1_T2_T3_mT4_P12ihipStream_tbEUlT_E0_NS1_11comp_targetILNS1_3genE2ELNS1_11target_archE906ELNS1_3gpuE6ELNS1_3repE0EEENS1_30default_config_static_selectorELNS0_4arch9wavefront6targetE1EEEvSF_,"axG",@progbits,_ZN7rocprim17ROCPRIM_400000_NS6detail17trampoline_kernelINS0_14default_configENS1_22reduce_config_selectorI18summary_stats_dataIfEEEZNS1_11reduce_implILb1ES3_PS6_S9_S6_23summary_stats_binary_opIfEEE10hipError_tPvRmT1_T2_T3_mT4_P12ihipStream_tbEUlT_E0_NS1_11comp_targetILNS1_3genE2ELNS1_11target_archE906ELNS1_3gpuE6ELNS1_3repE0EEENS1_30default_config_static_selectorELNS0_4arch9wavefront6targetE1EEEvSF_,comdat
.Lfunc_end4:
	.size	_ZN7rocprim17ROCPRIM_400000_NS6detail17trampoline_kernelINS0_14default_configENS1_22reduce_config_selectorI18summary_stats_dataIfEEEZNS1_11reduce_implILb1ES3_PS6_S9_S6_23summary_stats_binary_opIfEEE10hipError_tPvRmT1_T2_T3_mT4_P12ihipStream_tbEUlT_E0_NS1_11comp_targetILNS1_3genE2ELNS1_11target_archE906ELNS1_3gpuE6ELNS1_3repE0EEENS1_30default_config_static_selectorELNS0_4arch9wavefront6targetE1EEEvSF_, .Lfunc_end4-_ZN7rocprim17ROCPRIM_400000_NS6detail17trampoline_kernelINS0_14default_configENS1_22reduce_config_selectorI18summary_stats_dataIfEEEZNS1_11reduce_implILb1ES3_PS6_S9_S6_23summary_stats_binary_opIfEEE10hipError_tPvRmT1_T2_T3_mT4_P12ihipStream_tbEUlT_E0_NS1_11comp_targetILNS1_3genE2ELNS1_11target_archE906ELNS1_3gpuE6ELNS1_3repE0EEENS1_30default_config_static_selectorELNS0_4arch9wavefront6targetE1EEEvSF_
                                        ; -- End function
	.set _ZN7rocprim17ROCPRIM_400000_NS6detail17trampoline_kernelINS0_14default_configENS1_22reduce_config_selectorI18summary_stats_dataIfEEEZNS1_11reduce_implILb1ES3_PS6_S9_S6_23summary_stats_binary_opIfEEE10hipError_tPvRmT1_T2_T3_mT4_P12ihipStream_tbEUlT_E0_NS1_11comp_targetILNS1_3genE2ELNS1_11target_archE906ELNS1_3gpuE6ELNS1_3repE0EEENS1_30default_config_static_selectorELNS0_4arch9wavefront6targetE1EEEvSF_.num_vgpr, 38
	.set _ZN7rocprim17ROCPRIM_400000_NS6detail17trampoline_kernelINS0_14default_configENS1_22reduce_config_selectorI18summary_stats_dataIfEEEZNS1_11reduce_implILb1ES3_PS6_S9_S6_23summary_stats_binary_opIfEEE10hipError_tPvRmT1_T2_T3_mT4_P12ihipStream_tbEUlT_E0_NS1_11comp_targetILNS1_3genE2ELNS1_11target_archE906ELNS1_3gpuE6ELNS1_3repE0EEENS1_30default_config_static_selectorELNS0_4arch9wavefront6targetE1EEEvSF_.num_agpr, 0
	.set _ZN7rocprim17ROCPRIM_400000_NS6detail17trampoline_kernelINS0_14default_configENS1_22reduce_config_selectorI18summary_stats_dataIfEEEZNS1_11reduce_implILb1ES3_PS6_S9_S6_23summary_stats_binary_opIfEEE10hipError_tPvRmT1_T2_T3_mT4_P12ihipStream_tbEUlT_E0_NS1_11comp_targetILNS1_3genE2ELNS1_11target_archE906ELNS1_3gpuE6ELNS1_3repE0EEENS1_30default_config_static_selectorELNS0_4arch9wavefront6targetE1EEEvSF_.numbered_sgpr, 32
	.set _ZN7rocprim17ROCPRIM_400000_NS6detail17trampoline_kernelINS0_14default_configENS1_22reduce_config_selectorI18summary_stats_dataIfEEEZNS1_11reduce_implILb1ES3_PS6_S9_S6_23summary_stats_binary_opIfEEE10hipError_tPvRmT1_T2_T3_mT4_P12ihipStream_tbEUlT_E0_NS1_11comp_targetILNS1_3genE2ELNS1_11target_archE906ELNS1_3gpuE6ELNS1_3repE0EEENS1_30default_config_static_selectorELNS0_4arch9wavefront6targetE1EEEvSF_.num_named_barrier, 0
	.set _ZN7rocprim17ROCPRIM_400000_NS6detail17trampoline_kernelINS0_14default_configENS1_22reduce_config_selectorI18summary_stats_dataIfEEEZNS1_11reduce_implILb1ES3_PS6_S9_S6_23summary_stats_binary_opIfEEE10hipError_tPvRmT1_T2_T3_mT4_P12ihipStream_tbEUlT_E0_NS1_11comp_targetILNS1_3genE2ELNS1_11target_archE906ELNS1_3gpuE6ELNS1_3repE0EEENS1_30default_config_static_selectorELNS0_4arch9wavefront6targetE1EEEvSF_.private_seg_size, 0
	.set _ZN7rocprim17ROCPRIM_400000_NS6detail17trampoline_kernelINS0_14default_configENS1_22reduce_config_selectorI18summary_stats_dataIfEEEZNS1_11reduce_implILb1ES3_PS6_S9_S6_23summary_stats_binary_opIfEEE10hipError_tPvRmT1_T2_T3_mT4_P12ihipStream_tbEUlT_E0_NS1_11comp_targetILNS1_3genE2ELNS1_11target_archE906ELNS1_3gpuE6ELNS1_3repE0EEENS1_30default_config_static_selectorELNS0_4arch9wavefront6targetE1EEEvSF_.uses_vcc, 1
	.set _ZN7rocprim17ROCPRIM_400000_NS6detail17trampoline_kernelINS0_14default_configENS1_22reduce_config_selectorI18summary_stats_dataIfEEEZNS1_11reduce_implILb1ES3_PS6_S9_S6_23summary_stats_binary_opIfEEE10hipError_tPvRmT1_T2_T3_mT4_P12ihipStream_tbEUlT_E0_NS1_11comp_targetILNS1_3genE2ELNS1_11target_archE906ELNS1_3gpuE6ELNS1_3repE0EEENS1_30default_config_static_selectorELNS0_4arch9wavefront6targetE1EEEvSF_.uses_flat_scratch, 0
	.set _ZN7rocprim17ROCPRIM_400000_NS6detail17trampoline_kernelINS0_14default_configENS1_22reduce_config_selectorI18summary_stats_dataIfEEEZNS1_11reduce_implILb1ES3_PS6_S9_S6_23summary_stats_binary_opIfEEE10hipError_tPvRmT1_T2_T3_mT4_P12ihipStream_tbEUlT_E0_NS1_11comp_targetILNS1_3genE2ELNS1_11target_archE906ELNS1_3gpuE6ELNS1_3repE0EEENS1_30default_config_static_selectorELNS0_4arch9wavefront6targetE1EEEvSF_.has_dyn_sized_stack, 0
	.set _ZN7rocprim17ROCPRIM_400000_NS6detail17trampoline_kernelINS0_14default_configENS1_22reduce_config_selectorI18summary_stats_dataIfEEEZNS1_11reduce_implILb1ES3_PS6_S9_S6_23summary_stats_binary_opIfEEE10hipError_tPvRmT1_T2_T3_mT4_P12ihipStream_tbEUlT_E0_NS1_11comp_targetILNS1_3genE2ELNS1_11target_archE906ELNS1_3gpuE6ELNS1_3repE0EEENS1_30default_config_static_selectorELNS0_4arch9wavefront6targetE1EEEvSF_.has_recursion, 0
	.set _ZN7rocprim17ROCPRIM_400000_NS6detail17trampoline_kernelINS0_14default_configENS1_22reduce_config_selectorI18summary_stats_dataIfEEEZNS1_11reduce_implILb1ES3_PS6_S9_S6_23summary_stats_binary_opIfEEE10hipError_tPvRmT1_T2_T3_mT4_P12ihipStream_tbEUlT_E0_NS1_11comp_targetILNS1_3genE2ELNS1_11target_archE906ELNS1_3gpuE6ELNS1_3repE0EEENS1_30default_config_static_selectorELNS0_4arch9wavefront6targetE1EEEvSF_.has_indirect_call, 0
	.section	.AMDGPU.csdata,"",@progbits
; Kernel info:
; codeLenInByte = 15624
; TotalNumSgprs: 36
; NumVgprs: 38
; ScratchSize: 0
; MemoryBound: 1
; FloatMode: 240
; IeeeMode: 1
; LDSByteSize: 224 bytes/workgroup (compile time only)
; SGPRBlocks: 4
; VGPRBlocks: 9
; NumSGPRsForWavesPerEU: 36
; NumVGPRsForWavesPerEU: 38
; Occupancy: 6
; WaveLimiterHint : 1
; COMPUTE_PGM_RSRC2:SCRATCH_EN: 0
; COMPUTE_PGM_RSRC2:USER_SGPR: 6
; COMPUTE_PGM_RSRC2:TRAP_HANDLER: 0
; COMPUTE_PGM_RSRC2:TGID_X_EN: 1
; COMPUTE_PGM_RSRC2:TGID_Y_EN: 0
; COMPUTE_PGM_RSRC2:TGID_Z_EN: 0
; COMPUTE_PGM_RSRC2:TIDIG_COMP_CNT: 0
	.section	.text._ZN7rocprim17ROCPRIM_400000_NS6detail17trampoline_kernelINS0_14default_configENS1_22reduce_config_selectorI18summary_stats_dataIfEEEZNS1_11reduce_implILb1ES3_PS6_S9_S6_23summary_stats_binary_opIfEEE10hipError_tPvRmT1_T2_T3_mT4_P12ihipStream_tbEUlT_E0_NS1_11comp_targetILNS1_3genE10ELNS1_11target_archE1201ELNS1_3gpuE5ELNS1_3repE0EEENS1_30default_config_static_selectorELNS0_4arch9wavefront6targetE1EEEvSF_,"axG",@progbits,_ZN7rocprim17ROCPRIM_400000_NS6detail17trampoline_kernelINS0_14default_configENS1_22reduce_config_selectorI18summary_stats_dataIfEEEZNS1_11reduce_implILb1ES3_PS6_S9_S6_23summary_stats_binary_opIfEEE10hipError_tPvRmT1_T2_T3_mT4_P12ihipStream_tbEUlT_E0_NS1_11comp_targetILNS1_3genE10ELNS1_11target_archE1201ELNS1_3gpuE5ELNS1_3repE0EEENS1_30default_config_static_selectorELNS0_4arch9wavefront6targetE1EEEvSF_,comdat
	.protected	_ZN7rocprim17ROCPRIM_400000_NS6detail17trampoline_kernelINS0_14default_configENS1_22reduce_config_selectorI18summary_stats_dataIfEEEZNS1_11reduce_implILb1ES3_PS6_S9_S6_23summary_stats_binary_opIfEEE10hipError_tPvRmT1_T2_T3_mT4_P12ihipStream_tbEUlT_E0_NS1_11comp_targetILNS1_3genE10ELNS1_11target_archE1201ELNS1_3gpuE5ELNS1_3repE0EEENS1_30default_config_static_selectorELNS0_4arch9wavefront6targetE1EEEvSF_ ; -- Begin function _ZN7rocprim17ROCPRIM_400000_NS6detail17trampoline_kernelINS0_14default_configENS1_22reduce_config_selectorI18summary_stats_dataIfEEEZNS1_11reduce_implILb1ES3_PS6_S9_S6_23summary_stats_binary_opIfEEE10hipError_tPvRmT1_T2_T3_mT4_P12ihipStream_tbEUlT_E0_NS1_11comp_targetILNS1_3genE10ELNS1_11target_archE1201ELNS1_3gpuE5ELNS1_3repE0EEENS1_30default_config_static_selectorELNS0_4arch9wavefront6targetE1EEEvSF_
	.globl	_ZN7rocprim17ROCPRIM_400000_NS6detail17trampoline_kernelINS0_14default_configENS1_22reduce_config_selectorI18summary_stats_dataIfEEEZNS1_11reduce_implILb1ES3_PS6_S9_S6_23summary_stats_binary_opIfEEE10hipError_tPvRmT1_T2_T3_mT4_P12ihipStream_tbEUlT_E0_NS1_11comp_targetILNS1_3genE10ELNS1_11target_archE1201ELNS1_3gpuE5ELNS1_3repE0EEENS1_30default_config_static_selectorELNS0_4arch9wavefront6targetE1EEEvSF_
	.p2align	8
	.type	_ZN7rocprim17ROCPRIM_400000_NS6detail17trampoline_kernelINS0_14default_configENS1_22reduce_config_selectorI18summary_stats_dataIfEEEZNS1_11reduce_implILb1ES3_PS6_S9_S6_23summary_stats_binary_opIfEEE10hipError_tPvRmT1_T2_T3_mT4_P12ihipStream_tbEUlT_E0_NS1_11comp_targetILNS1_3genE10ELNS1_11target_archE1201ELNS1_3gpuE5ELNS1_3repE0EEENS1_30default_config_static_selectorELNS0_4arch9wavefront6targetE1EEEvSF_,@function
_ZN7rocprim17ROCPRIM_400000_NS6detail17trampoline_kernelINS0_14default_configENS1_22reduce_config_selectorI18summary_stats_dataIfEEEZNS1_11reduce_implILb1ES3_PS6_S9_S6_23summary_stats_binary_opIfEEE10hipError_tPvRmT1_T2_T3_mT4_P12ihipStream_tbEUlT_E0_NS1_11comp_targetILNS1_3genE10ELNS1_11target_archE1201ELNS1_3gpuE5ELNS1_3repE0EEENS1_30default_config_static_selectorELNS0_4arch9wavefront6targetE1EEEvSF_: ; @_ZN7rocprim17ROCPRIM_400000_NS6detail17trampoline_kernelINS0_14default_configENS1_22reduce_config_selectorI18summary_stats_dataIfEEEZNS1_11reduce_implILb1ES3_PS6_S9_S6_23summary_stats_binary_opIfEEE10hipError_tPvRmT1_T2_T3_mT4_P12ihipStream_tbEUlT_E0_NS1_11comp_targetILNS1_3genE10ELNS1_11target_archE1201ELNS1_3gpuE5ELNS1_3repE0EEENS1_30default_config_static_selectorELNS0_4arch9wavefront6targetE1EEEvSF_
; %bb.0:
	.section	.rodata,"a",@progbits
	.p2align	6, 0x0
	.amdhsa_kernel _ZN7rocprim17ROCPRIM_400000_NS6detail17trampoline_kernelINS0_14default_configENS1_22reduce_config_selectorI18summary_stats_dataIfEEEZNS1_11reduce_implILb1ES3_PS6_S9_S6_23summary_stats_binary_opIfEEE10hipError_tPvRmT1_T2_T3_mT4_P12ihipStream_tbEUlT_E0_NS1_11comp_targetILNS1_3genE10ELNS1_11target_archE1201ELNS1_3gpuE5ELNS1_3repE0EEENS1_30default_config_static_selectorELNS0_4arch9wavefront6targetE1EEEvSF_
		.amdhsa_group_segment_fixed_size 0
		.amdhsa_private_segment_fixed_size 0
		.amdhsa_kernarg_size 80
		.amdhsa_user_sgpr_count 6
		.amdhsa_user_sgpr_private_segment_buffer 1
		.amdhsa_user_sgpr_dispatch_ptr 0
		.amdhsa_user_sgpr_queue_ptr 0
		.amdhsa_user_sgpr_kernarg_segment_ptr 1
		.amdhsa_user_sgpr_dispatch_id 0
		.amdhsa_user_sgpr_flat_scratch_init 0
		.amdhsa_user_sgpr_private_segment_size 0
		.amdhsa_uses_dynamic_stack 0
		.amdhsa_system_sgpr_private_segment_wavefront_offset 0
		.amdhsa_system_sgpr_workgroup_id_x 1
		.amdhsa_system_sgpr_workgroup_id_y 0
		.amdhsa_system_sgpr_workgroup_id_z 0
		.amdhsa_system_sgpr_workgroup_info 0
		.amdhsa_system_vgpr_workitem_id 0
		.amdhsa_next_free_vgpr 1
		.amdhsa_next_free_sgpr 0
		.amdhsa_reserve_vcc 0
		.amdhsa_reserve_flat_scratch 0
		.amdhsa_float_round_mode_32 0
		.amdhsa_float_round_mode_16_64 0
		.amdhsa_float_denorm_mode_32 3
		.amdhsa_float_denorm_mode_16_64 3
		.amdhsa_dx10_clamp 1
		.amdhsa_ieee_mode 1
		.amdhsa_fp16_overflow 0
		.amdhsa_exception_fp_ieee_invalid_op 0
		.amdhsa_exception_fp_denorm_src 0
		.amdhsa_exception_fp_ieee_div_zero 0
		.amdhsa_exception_fp_ieee_overflow 0
		.amdhsa_exception_fp_ieee_underflow 0
		.amdhsa_exception_fp_ieee_inexact 0
		.amdhsa_exception_int_div_zero 0
	.end_amdhsa_kernel
	.section	.text._ZN7rocprim17ROCPRIM_400000_NS6detail17trampoline_kernelINS0_14default_configENS1_22reduce_config_selectorI18summary_stats_dataIfEEEZNS1_11reduce_implILb1ES3_PS6_S9_S6_23summary_stats_binary_opIfEEE10hipError_tPvRmT1_T2_T3_mT4_P12ihipStream_tbEUlT_E0_NS1_11comp_targetILNS1_3genE10ELNS1_11target_archE1201ELNS1_3gpuE5ELNS1_3repE0EEENS1_30default_config_static_selectorELNS0_4arch9wavefront6targetE1EEEvSF_,"axG",@progbits,_ZN7rocprim17ROCPRIM_400000_NS6detail17trampoline_kernelINS0_14default_configENS1_22reduce_config_selectorI18summary_stats_dataIfEEEZNS1_11reduce_implILb1ES3_PS6_S9_S6_23summary_stats_binary_opIfEEE10hipError_tPvRmT1_T2_T3_mT4_P12ihipStream_tbEUlT_E0_NS1_11comp_targetILNS1_3genE10ELNS1_11target_archE1201ELNS1_3gpuE5ELNS1_3repE0EEENS1_30default_config_static_selectorELNS0_4arch9wavefront6targetE1EEEvSF_,comdat
.Lfunc_end5:
	.size	_ZN7rocprim17ROCPRIM_400000_NS6detail17trampoline_kernelINS0_14default_configENS1_22reduce_config_selectorI18summary_stats_dataIfEEEZNS1_11reduce_implILb1ES3_PS6_S9_S6_23summary_stats_binary_opIfEEE10hipError_tPvRmT1_T2_T3_mT4_P12ihipStream_tbEUlT_E0_NS1_11comp_targetILNS1_3genE10ELNS1_11target_archE1201ELNS1_3gpuE5ELNS1_3repE0EEENS1_30default_config_static_selectorELNS0_4arch9wavefront6targetE1EEEvSF_, .Lfunc_end5-_ZN7rocprim17ROCPRIM_400000_NS6detail17trampoline_kernelINS0_14default_configENS1_22reduce_config_selectorI18summary_stats_dataIfEEEZNS1_11reduce_implILb1ES3_PS6_S9_S6_23summary_stats_binary_opIfEEE10hipError_tPvRmT1_T2_T3_mT4_P12ihipStream_tbEUlT_E0_NS1_11comp_targetILNS1_3genE10ELNS1_11target_archE1201ELNS1_3gpuE5ELNS1_3repE0EEENS1_30default_config_static_selectorELNS0_4arch9wavefront6targetE1EEEvSF_
                                        ; -- End function
	.set _ZN7rocprim17ROCPRIM_400000_NS6detail17trampoline_kernelINS0_14default_configENS1_22reduce_config_selectorI18summary_stats_dataIfEEEZNS1_11reduce_implILb1ES3_PS6_S9_S6_23summary_stats_binary_opIfEEE10hipError_tPvRmT1_T2_T3_mT4_P12ihipStream_tbEUlT_E0_NS1_11comp_targetILNS1_3genE10ELNS1_11target_archE1201ELNS1_3gpuE5ELNS1_3repE0EEENS1_30default_config_static_selectorELNS0_4arch9wavefront6targetE1EEEvSF_.num_vgpr, 0
	.set _ZN7rocprim17ROCPRIM_400000_NS6detail17trampoline_kernelINS0_14default_configENS1_22reduce_config_selectorI18summary_stats_dataIfEEEZNS1_11reduce_implILb1ES3_PS6_S9_S6_23summary_stats_binary_opIfEEE10hipError_tPvRmT1_T2_T3_mT4_P12ihipStream_tbEUlT_E0_NS1_11comp_targetILNS1_3genE10ELNS1_11target_archE1201ELNS1_3gpuE5ELNS1_3repE0EEENS1_30default_config_static_selectorELNS0_4arch9wavefront6targetE1EEEvSF_.num_agpr, 0
	.set _ZN7rocprim17ROCPRIM_400000_NS6detail17trampoline_kernelINS0_14default_configENS1_22reduce_config_selectorI18summary_stats_dataIfEEEZNS1_11reduce_implILb1ES3_PS6_S9_S6_23summary_stats_binary_opIfEEE10hipError_tPvRmT1_T2_T3_mT4_P12ihipStream_tbEUlT_E0_NS1_11comp_targetILNS1_3genE10ELNS1_11target_archE1201ELNS1_3gpuE5ELNS1_3repE0EEENS1_30default_config_static_selectorELNS0_4arch9wavefront6targetE1EEEvSF_.numbered_sgpr, 0
	.set _ZN7rocprim17ROCPRIM_400000_NS6detail17trampoline_kernelINS0_14default_configENS1_22reduce_config_selectorI18summary_stats_dataIfEEEZNS1_11reduce_implILb1ES3_PS6_S9_S6_23summary_stats_binary_opIfEEE10hipError_tPvRmT1_T2_T3_mT4_P12ihipStream_tbEUlT_E0_NS1_11comp_targetILNS1_3genE10ELNS1_11target_archE1201ELNS1_3gpuE5ELNS1_3repE0EEENS1_30default_config_static_selectorELNS0_4arch9wavefront6targetE1EEEvSF_.num_named_barrier, 0
	.set _ZN7rocprim17ROCPRIM_400000_NS6detail17trampoline_kernelINS0_14default_configENS1_22reduce_config_selectorI18summary_stats_dataIfEEEZNS1_11reduce_implILb1ES3_PS6_S9_S6_23summary_stats_binary_opIfEEE10hipError_tPvRmT1_T2_T3_mT4_P12ihipStream_tbEUlT_E0_NS1_11comp_targetILNS1_3genE10ELNS1_11target_archE1201ELNS1_3gpuE5ELNS1_3repE0EEENS1_30default_config_static_selectorELNS0_4arch9wavefront6targetE1EEEvSF_.private_seg_size, 0
	.set _ZN7rocprim17ROCPRIM_400000_NS6detail17trampoline_kernelINS0_14default_configENS1_22reduce_config_selectorI18summary_stats_dataIfEEEZNS1_11reduce_implILb1ES3_PS6_S9_S6_23summary_stats_binary_opIfEEE10hipError_tPvRmT1_T2_T3_mT4_P12ihipStream_tbEUlT_E0_NS1_11comp_targetILNS1_3genE10ELNS1_11target_archE1201ELNS1_3gpuE5ELNS1_3repE0EEENS1_30default_config_static_selectorELNS0_4arch9wavefront6targetE1EEEvSF_.uses_vcc, 0
	.set _ZN7rocprim17ROCPRIM_400000_NS6detail17trampoline_kernelINS0_14default_configENS1_22reduce_config_selectorI18summary_stats_dataIfEEEZNS1_11reduce_implILb1ES3_PS6_S9_S6_23summary_stats_binary_opIfEEE10hipError_tPvRmT1_T2_T3_mT4_P12ihipStream_tbEUlT_E0_NS1_11comp_targetILNS1_3genE10ELNS1_11target_archE1201ELNS1_3gpuE5ELNS1_3repE0EEENS1_30default_config_static_selectorELNS0_4arch9wavefront6targetE1EEEvSF_.uses_flat_scratch, 0
	.set _ZN7rocprim17ROCPRIM_400000_NS6detail17trampoline_kernelINS0_14default_configENS1_22reduce_config_selectorI18summary_stats_dataIfEEEZNS1_11reduce_implILb1ES3_PS6_S9_S6_23summary_stats_binary_opIfEEE10hipError_tPvRmT1_T2_T3_mT4_P12ihipStream_tbEUlT_E0_NS1_11comp_targetILNS1_3genE10ELNS1_11target_archE1201ELNS1_3gpuE5ELNS1_3repE0EEENS1_30default_config_static_selectorELNS0_4arch9wavefront6targetE1EEEvSF_.has_dyn_sized_stack, 0
	.set _ZN7rocprim17ROCPRIM_400000_NS6detail17trampoline_kernelINS0_14default_configENS1_22reduce_config_selectorI18summary_stats_dataIfEEEZNS1_11reduce_implILb1ES3_PS6_S9_S6_23summary_stats_binary_opIfEEE10hipError_tPvRmT1_T2_T3_mT4_P12ihipStream_tbEUlT_E0_NS1_11comp_targetILNS1_3genE10ELNS1_11target_archE1201ELNS1_3gpuE5ELNS1_3repE0EEENS1_30default_config_static_selectorELNS0_4arch9wavefront6targetE1EEEvSF_.has_recursion, 0
	.set _ZN7rocprim17ROCPRIM_400000_NS6detail17trampoline_kernelINS0_14default_configENS1_22reduce_config_selectorI18summary_stats_dataIfEEEZNS1_11reduce_implILb1ES3_PS6_S9_S6_23summary_stats_binary_opIfEEE10hipError_tPvRmT1_T2_T3_mT4_P12ihipStream_tbEUlT_E0_NS1_11comp_targetILNS1_3genE10ELNS1_11target_archE1201ELNS1_3gpuE5ELNS1_3repE0EEENS1_30default_config_static_selectorELNS0_4arch9wavefront6targetE1EEEvSF_.has_indirect_call, 0
	.section	.AMDGPU.csdata,"",@progbits
; Kernel info:
; codeLenInByte = 0
; TotalNumSgprs: 4
; NumVgprs: 0
; ScratchSize: 0
; MemoryBound: 0
; FloatMode: 240
; IeeeMode: 1
; LDSByteSize: 0 bytes/workgroup (compile time only)
; SGPRBlocks: 0
; VGPRBlocks: 0
; NumSGPRsForWavesPerEU: 4
; NumVGPRsForWavesPerEU: 1
; Occupancy: 10
; WaveLimiterHint : 0
; COMPUTE_PGM_RSRC2:SCRATCH_EN: 0
; COMPUTE_PGM_RSRC2:USER_SGPR: 6
; COMPUTE_PGM_RSRC2:TRAP_HANDLER: 0
; COMPUTE_PGM_RSRC2:TGID_X_EN: 1
; COMPUTE_PGM_RSRC2:TGID_Y_EN: 0
; COMPUTE_PGM_RSRC2:TGID_Z_EN: 0
; COMPUTE_PGM_RSRC2:TIDIG_COMP_CNT: 0
	.section	.text._ZN7rocprim17ROCPRIM_400000_NS6detail17trampoline_kernelINS0_14default_configENS1_22reduce_config_selectorI18summary_stats_dataIfEEEZNS1_11reduce_implILb1ES3_PS6_S9_S6_23summary_stats_binary_opIfEEE10hipError_tPvRmT1_T2_T3_mT4_P12ihipStream_tbEUlT_E0_NS1_11comp_targetILNS1_3genE10ELNS1_11target_archE1200ELNS1_3gpuE4ELNS1_3repE0EEENS1_30default_config_static_selectorELNS0_4arch9wavefront6targetE1EEEvSF_,"axG",@progbits,_ZN7rocprim17ROCPRIM_400000_NS6detail17trampoline_kernelINS0_14default_configENS1_22reduce_config_selectorI18summary_stats_dataIfEEEZNS1_11reduce_implILb1ES3_PS6_S9_S6_23summary_stats_binary_opIfEEE10hipError_tPvRmT1_T2_T3_mT4_P12ihipStream_tbEUlT_E0_NS1_11comp_targetILNS1_3genE10ELNS1_11target_archE1200ELNS1_3gpuE4ELNS1_3repE0EEENS1_30default_config_static_selectorELNS0_4arch9wavefront6targetE1EEEvSF_,comdat
	.protected	_ZN7rocprim17ROCPRIM_400000_NS6detail17trampoline_kernelINS0_14default_configENS1_22reduce_config_selectorI18summary_stats_dataIfEEEZNS1_11reduce_implILb1ES3_PS6_S9_S6_23summary_stats_binary_opIfEEE10hipError_tPvRmT1_T2_T3_mT4_P12ihipStream_tbEUlT_E0_NS1_11comp_targetILNS1_3genE10ELNS1_11target_archE1200ELNS1_3gpuE4ELNS1_3repE0EEENS1_30default_config_static_selectorELNS0_4arch9wavefront6targetE1EEEvSF_ ; -- Begin function _ZN7rocprim17ROCPRIM_400000_NS6detail17trampoline_kernelINS0_14default_configENS1_22reduce_config_selectorI18summary_stats_dataIfEEEZNS1_11reduce_implILb1ES3_PS6_S9_S6_23summary_stats_binary_opIfEEE10hipError_tPvRmT1_T2_T3_mT4_P12ihipStream_tbEUlT_E0_NS1_11comp_targetILNS1_3genE10ELNS1_11target_archE1200ELNS1_3gpuE4ELNS1_3repE0EEENS1_30default_config_static_selectorELNS0_4arch9wavefront6targetE1EEEvSF_
	.globl	_ZN7rocprim17ROCPRIM_400000_NS6detail17trampoline_kernelINS0_14default_configENS1_22reduce_config_selectorI18summary_stats_dataIfEEEZNS1_11reduce_implILb1ES3_PS6_S9_S6_23summary_stats_binary_opIfEEE10hipError_tPvRmT1_T2_T3_mT4_P12ihipStream_tbEUlT_E0_NS1_11comp_targetILNS1_3genE10ELNS1_11target_archE1200ELNS1_3gpuE4ELNS1_3repE0EEENS1_30default_config_static_selectorELNS0_4arch9wavefront6targetE1EEEvSF_
	.p2align	8
	.type	_ZN7rocprim17ROCPRIM_400000_NS6detail17trampoline_kernelINS0_14default_configENS1_22reduce_config_selectorI18summary_stats_dataIfEEEZNS1_11reduce_implILb1ES3_PS6_S9_S6_23summary_stats_binary_opIfEEE10hipError_tPvRmT1_T2_T3_mT4_P12ihipStream_tbEUlT_E0_NS1_11comp_targetILNS1_3genE10ELNS1_11target_archE1200ELNS1_3gpuE4ELNS1_3repE0EEENS1_30default_config_static_selectorELNS0_4arch9wavefront6targetE1EEEvSF_,@function
_ZN7rocprim17ROCPRIM_400000_NS6detail17trampoline_kernelINS0_14default_configENS1_22reduce_config_selectorI18summary_stats_dataIfEEEZNS1_11reduce_implILb1ES3_PS6_S9_S6_23summary_stats_binary_opIfEEE10hipError_tPvRmT1_T2_T3_mT4_P12ihipStream_tbEUlT_E0_NS1_11comp_targetILNS1_3genE10ELNS1_11target_archE1200ELNS1_3gpuE4ELNS1_3repE0EEENS1_30default_config_static_selectorELNS0_4arch9wavefront6targetE1EEEvSF_: ; @_ZN7rocprim17ROCPRIM_400000_NS6detail17trampoline_kernelINS0_14default_configENS1_22reduce_config_selectorI18summary_stats_dataIfEEEZNS1_11reduce_implILb1ES3_PS6_S9_S6_23summary_stats_binary_opIfEEE10hipError_tPvRmT1_T2_T3_mT4_P12ihipStream_tbEUlT_E0_NS1_11comp_targetILNS1_3genE10ELNS1_11target_archE1200ELNS1_3gpuE4ELNS1_3repE0EEENS1_30default_config_static_selectorELNS0_4arch9wavefront6targetE1EEEvSF_
; %bb.0:
	.section	.rodata,"a",@progbits
	.p2align	6, 0x0
	.amdhsa_kernel _ZN7rocprim17ROCPRIM_400000_NS6detail17trampoline_kernelINS0_14default_configENS1_22reduce_config_selectorI18summary_stats_dataIfEEEZNS1_11reduce_implILb1ES3_PS6_S9_S6_23summary_stats_binary_opIfEEE10hipError_tPvRmT1_T2_T3_mT4_P12ihipStream_tbEUlT_E0_NS1_11comp_targetILNS1_3genE10ELNS1_11target_archE1200ELNS1_3gpuE4ELNS1_3repE0EEENS1_30default_config_static_selectorELNS0_4arch9wavefront6targetE1EEEvSF_
		.amdhsa_group_segment_fixed_size 0
		.amdhsa_private_segment_fixed_size 0
		.amdhsa_kernarg_size 80
		.amdhsa_user_sgpr_count 6
		.amdhsa_user_sgpr_private_segment_buffer 1
		.amdhsa_user_sgpr_dispatch_ptr 0
		.amdhsa_user_sgpr_queue_ptr 0
		.amdhsa_user_sgpr_kernarg_segment_ptr 1
		.amdhsa_user_sgpr_dispatch_id 0
		.amdhsa_user_sgpr_flat_scratch_init 0
		.amdhsa_user_sgpr_private_segment_size 0
		.amdhsa_uses_dynamic_stack 0
		.amdhsa_system_sgpr_private_segment_wavefront_offset 0
		.amdhsa_system_sgpr_workgroup_id_x 1
		.amdhsa_system_sgpr_workgroup_id_y 0
		.amdhsa_system_sgpr_workgroup_id_z 0
		.amdhsa_system_sgpr_workgroup_info 0
		.amdhsa_system_vgpr_workitem_id 0
		.amdhsa_next_free_vgpr 1
		.amdhsa_next_free_sgpr 0
		.amdhsa_reserve_vcc 0
		.amdhsa_reserve_flat_scratch 0
		.amdhsa_float_round_mode_32 0
		.amdhsa_float_round_mode_16_64 0
		.amdhsa_float_denorm_mode_32 3
		.amdhsa_float_denorm_mode_16_64 3
		.amdhsa_dx10_clamp 1
		.amdhsa_ieee_mode 1
		.amdhsa_fp16_overflow 0
		.amdhsa_exception_fp_ieee_invalid_op 0
		.amdhsa_exception_fp_denorm_src 0
		.amdhsa_exception_fp_ieee_div_zero 0
		.amdhsa_exception_fp_ieee_overflow 0
		.amdhsa_exception_fp_ieee_underflow 0
		.amdhsa_exception_fp_ieee_inexact 0
		.amdhsa_exception_int_div_zero 0
	.end_amdhsa_kernel
	.section	.text._ZN7rocprim17ROCPRIM_400000_NS6detail17trampoline_kernelINS0_14default_configENS1_22reduce_config_selectorI18summary_stats_dataIfEEEZNS1_11reduce_implILb1ES3_PS6_S9_S6_23summary_stats_binary_opIfEEE10hipError_tPvRmT1_T2_T3_mT4_P12ihipStream_tbEUlT_E0_NS1_11comp_targetILNS1_3genE10ELNS1_11target_archE1200ELNS1_3gpuE4ELNS1_3repE0EEENS1_30default_config_static_selectorELNS0_4arch9wavefront6targetE1EEEvSF_,"axG",@progbits,_ZN7rocprim17ROCPRIM_400000_NS6detail17trampoline_kernelINS0_14default_configENS1_22reduce_config_selectorI18summary_stats_dataIfEEEZNS1_11reduce_implILb1ES3_PS6_S9_S6_23summary_stats_binary_opIfEEE10hipError_tPvRmT1_T2_T3_mT4_P12ihipStream_tbEUlT_E0_NS1_11comp_targetILNS1_3genE10ELNS1_11target_archE1200ELNS1_3gpuE4ELNS1_3repE0EEENS1_30default_config_static_selectorELNS0_4arch9wavefront6targetE1EEEvSF_,comdat
.Lfunc_end6:
	.size	_ZN7rocprim17ROCPRIM_400000_NS6detail17trampoline_kernelINS0_14default_configENS1_22reduce_config_selectorI18summary_stats_dataIfEEEZNS1_11reduce_implILb1ES3_PS6_S9_S6_23summary_stats_binary_opIfEEE10hipError_tPvRmT1_T2_T3_mT4_P12ihipStream_tbEUlT_E0_NS1_11comp_targetILNS1_3genE10ELNS1_11target_archE1200ELNS1_3gpuE4ELNS1_3repE0EEENS1_30default_config_static_selectorELNS0_4arch9wavefront6targetE1EEEvSF_, .Lfunc_end6-_ZN7rocprim17ROCPRIM_400000_NS6detail17trampoline_kernelINS0_14default_configENS1_22reduce_config_selectorI18summary_stats_dataIfEEEZNS1_11reduce_implILb1ES3_PS6_S9_S6_23summary_stats_binary_opIfEEE10hipError_tPvRmT1_T2_T3_mT4_P12ihipStream_tbEUlT_E0_NS1_11comp_targetILNS1_3genE10ELNS1_11target_archE1200ELNS1_3gpuE4ELNS1_3repE0EEENS1_30default_config_static_selectorELNS0_4arch9wavefront6targetE1EEEvSF_
                                        ; -- End function
	.set _ZN7rocprim17ROCPRIM_400000_NS6detail17trampoline_kernelINS0_14default_configENS1_22reduce_config_selectorI18summary_stats_dataIfEEEZNS1_11reduce_implILb1ES3_PS6_S9_S6_23summary_stats_binary_opIfEEE10hipError_tPvRmT1_T2_T3_mT4_P12ihipStream_tbEUlT_E0_NS1_11comp_targetILNS1_3genE10ELNS1_11target_archE1200ELNS1_3gpuE4ELNS1_3repE0EEENS1_30default_config_static_selectorELNS0_4arch9wavefront6targetE1EEEvSF_.num_vgpr, 0
	.set _ZN7rocprim17ROCPRIM_400000_NS6detail17trampoline_kernelINS0_14default_configENS1_22reduce_config_selectorI18summary_stats_dataIfEEEZNS1_11reduce_implILb1ES3_PS6_S9_S6_23summary_stats_binary_opIfEEE10hipError_tPvRmT1_T2_T3_mT4_P12ihipStream_tbEUlT_E0_NS1_11comp_targetILNS1_3genE10ELNS1_11target_archE1200ELNS1_3gpuE4ELNS1_3repE0EEENS1_30default_config_static_selectorELNS0_4arch9wavefront6targetE1EEEvSF_.num_agpr, 0
	.set _ZN7rocprim17ROCPRIM_400000_NS6detail17trampoline_kernelINS0_14default_configENS1_22reduce_config_selectorI18summary_stats_dataIfEEEZNS1_11reduce_implILb1ES3_PS6_S9_S6_23summary_stats_binary_opIfEEE10hipError_tPvRmT1_T2_T3_mT4_P12ihipStream_tbEUlT_E0_NS1_11comp_targetILNS1_3genE10ELNS1_11target_archE1200ELNS1_3gpuE4ELNS1_3repE0EEENS1_30default_config_static_selectorELNS0_4arch9wavefront6targetE1EEEvSF_.numbered_sgpr, 0
	.set _ZN7rocprim17ROCPRIM_400000_NS6detail17trampoline_kernelINS0_14default_configENS1_22reduce_config_selectorI18summary_stats_dataIfEEEZNS1_11reduce_implILb1ES3_PS6_S9_S6_23summary_stats_binary_opIfEEE10hipError_tPvRmT1_T2_T3_mT4_P12ihipStream_tbEUlT_E0_NS1_11comp_targetILNS1_3genE10ELNS1_11target_archE1200ELNS1_3gpuE4ELNS1_3repE0EEENS1_30default_config_static_selectorELNS0_4arch9wavefront6targetE1EEEvSF_.num_named_barrier, 0
	.set _ZN7rocprim17ROCPRIM_400000_NS6detail17trampoline_kernelINS0_14default_configENS1_22reduce_config_selectorI18summary_stats_dataIfEEEZNS1_11reduce_implILb1ES3_PS6_S9_S6_23summary_stats_binary_opIfEEE10hipError_tPvRmT1_T2_T3_mT4_P12ihipStream_tbEUlT_E0_NS1_11comp_targetILNS1_3genE10ELNS1_11target_archE1200ELNS1_3gpuE4ELNS1_3repE0EEENS1_30default_config_static_selectorELNS0_4arch9wavefront6targetE1EEEvSF_.private_seg_size, 0
	.set _ZN7rocprim17ROCPRIM_400000_NS6detail17trampoline_kernelINS0_14default_configENS1_22reduce_config_selectorI18summary_stats_dataIfEEEZNS1_11reduce_implILb1ES3_PS6_S9_S6_23summary_stats_binary_opIfEEE10hipError_tPvRmT1_T2_T3_mT4_P12ihipStream_tbEUlT_E0_NS1_11comp_targetILNS1_3genE10ELNS1_11target_archE1200ELNS1_3gpuE4ELNS1_3repE0EEENS1_30default_config_static_selectorELNS0_4arch9wavefront6targetE1EEEvSF_.uses_vcc, 0
	.set _ZN7rocprim17ROCPRIM_400000_NS6detail17trampoline_kernelINS0_14default_configENS1_22reduce_config_selectorI18summary_stats_dataIfEEEZNS1_11reduce_implILb1ES3_PS6_S9_S6_23summary_stats_binary_opIfEEE10hipError_tPvRmT1_T2_T3_mT4_P12ihipStream_tbEUlT_E0_NS1_11comp_targetILNS1_3genE10ELNS1_11target_archE1200ELNS1_3gpuE4ELNS1_3repE0EEENS1_30default_config_static_selectorELNS0_4arch9wavefront6targetE1EEEvSF_.uses_flat_scratch, 0
	.set _ZN7rocprim17ROCPRIM_400000_NS6detail17trampoline_kernelINS0_14default_configENS1_22reduce_config_selectorI18summary_stats_dataIfEEEZNS1_11reduce_implILb1ES3_PS6_S9_S6_23summary_stats_binary_opIfEEE10hipError_tPvRmT1_T2_T3_mT4_P12ihipStream_tbEUlT_E0_NS1_11comp_targetILNS1_3genE10ELNS1_11target_archE1200ELNS1_3gpuE4ELNS1_3repE0EEENS1_30default_config_static_selectorELNS0_4arch9wavefront6targetE1EEEvSF_.has_dyn_sized_stack, 0
	.set _ZN7rocprim17ROCPRIM_400000_NS6detail17trampoline_kernelINS0_14default_configENS1_22reduce_config_selectorI18summary_stats_dataIfEEEZNS1_11reduce_implILb1ES3_PS6_S9_S6_23summary_stats_binary_opIfEEE10hipError_tPvRmT1_T2_T3_mT4_P12ihipStream_tbEUlT_E0_NS1_11comp_targetILNS1_3genE10ELNS1_11target_archE1200ELNS1_3gpuE4ELNS1_3repE0EEENS1_30default_config_static_selectorELNS0_4arch9wavefront6targetE1EEEvSF_.has_recursion, 0
	.set _ZN7rocprim17ROCPRIM_400000_NS6detail17trampoline_kernelINS0_14default_configENS1_22reduce_config_selectorI18summary_stats_dataIfEEEZNS1_11reduce_implILb1ES3_PS6_S9_S6_23summary_stats_binary_opIfEEE10hipError_tPvRmT1_T2_T3_mT4_P12ihipStream_tbEUlT_E0_NS1_11comp_targetILNS1_3genE10ELNS1_11target_archE1200ELNS1_3gpuE4ELNS1_3repE0EEENS1_30default_config_static_selectorELNS0_4arch9wavefront6targetE1EEEvSF_.has_indirect_call, 0
	.section	.AMDGPU.csdata,"",@progbits
; Kernel info:
; codeLenInByte = 0
; TotalNumSgprs: 4
; NumVgprs: 0
; ScratchSize: 0
; MemoryBound: 0
; FloatMode: 240
; IeeeMode: 1
; LDSByteSize: 0 bytes/workgroup (compile time only)
; SGPRBlocks: 0
; VGPRBlocks: 0
; NumSGPRsForWavesPerEU: 4
; NumVGPRsForWavesPerEU: 1
; Occupancy: 10
; WaveLimiterHint : 0
; COMPUTE_PGM_RSRC2:SCRATCH_EN: 0
; COMPUTE_PGM_RSRC2:USER_SGPR: 6
; COMPUTE_PGM_RSRC2:TRAP_HANDLER: 0
; COMPUTE_PGM_RSRC2:TGID_X_EN: 1
; COMPUTE_PGM_RSRC2:TGID_Y_EN: 0
; COMPUTE_PGM_RSRC2:TGID_Z_EN: 0
; COMPUTE_PGM_RSRC2:TIDIG_COMP_CNT: 0
	.section	.text._ZN7rocprim17ROCPRIM_400000_NS6detail17trampoline_kernelINS0_14default_configENS1_22reduce_config_selectorI18summary_stats_dataIfEEEZNS1_11reduce_implILb1ES3_PS6_S9_S6_23summary_stats_binary_opIfEEE10hipError_tPvRmT1_T2_T3_mT4_P12ihipStream_tbEUlT_E0_NS1_11comp_targetILNS1_3genE9ELNS1_11target_archE1100ELNS1_3gpuE3ELNS1_3repE0EEENS1_30default_config_static_selectorELNS0_4arch9wavefront6targetE1EEEvSF_,"axG",@progbits,_ZN7rocprim17ROCPRIM_400000_NS6detail17trampoline_kernelINS0_14default_configENS1_22reduce_config_selectorI18summary_stats_dataIfEEEZNS1_11reduce_implILb1ES3_PS6_S9_S6_23summary_stats_binary_opIfEEE10hipError_tPvRmT1_T2_T3_mT4_P12ihipStream_tbEUlT_E0_NS1_11comp_targetILNS1_3genE9ELNS1_11target_archE1100ELNS1_3gpuE3ELNS1_3repE0EEENS1_30default_config_static_selectorELNS0_4arch9wavefront6targetE1EEEvSF_,comdat
	.protected	_ZN7rocprim17ROCPRIM_400000_NS6detail17trampoline_kernelINS0_14default_configENS1_22reduce_config_selectorI18summary_stats_dataIfEEEZNS1_11reduce_implILb1ES3_PS6_S9_S6_23summary_stats_binary_opIfEEE10hipError_tPvRmT1_T2_T3_mT4_P12ihipStream_tbEUlT_E0_NS1_11comp_targetILNS1_3genE9ELNS1_11target_archE1100ELNS1_3gpuE3ELNS1_3repE0EEENS1_30default_config_static_selectorELNS0_4arch9wavefront6targetE1EEEvSF_ ; -- Begin function _ZN7rocprim17ROCPRIM_400000_NS6detail17trampoline_kernelINS0_14default_configENS1_22reduce_config_selectorI18summary_stats_dataIfEEEZNS1_11reduce_implILb1ES3_PS6_S9_S6_23summary_stats_binary_opIfEEE10hipError_tPvRmT1_T2_T3_mT4_P12ihipStream_tbEUlT_E0_NS1_11comp_targetILNS1_3genE9ELNS1_11target_archE1100ELNS1_3gpuE3ELNS1_3repE0EEENS1_30default_config_static_selectorELNS0_4arch9wavefront6targetE1EEEvSF_
	.globl	_ZN7rocprim17ROCPRIM_400000_NS6detail17trampoline_kernelINS0_14default_configENS1_22reduce_config_selectorI18summary_stats_dataIfEEEZNS1_11reduce_implILb1ES3_PS6_S9_S6_23summary_stats_binary_opIfEEE10hipError_tPvRmT1_T2_T3_mT4_P12ihipStream_tbEUlT_E0_NS1_11comp_targetILNS1_3genE9ELNS1_11target_archE1100ELNS1_3gpuE3ELNS1_3repE0EEENS1_30default_config_static_selectorELNS0_4arch9wavefront6targetE1EEEvSF_
	.p2align	8
	.type	_ZN7rocprim17ROCPRIM_400000_NS6detail17trampoline_kernelINS0_14default_configENS1_22reduce_config_selectorI18summary_stats_dataIfEEEZNS1_11reduce_implILb1ES3_PS6_S9_S6_23summary_stats_binary_opIfEEE10hipError_tPvRmT1_T2_T3_mT4_P12ihipStream_tbEUlT_E0_NS1_11comp_targetILNS1_3genE9ELNS1_11target_archE1100ELNS1_3gpuE3ELNS1_3repE0EEENS1_30default_config_static_selectorELNS0_4arch9wavefront6targetE1EEEvSF_,@function
_ZN7rocprim17ROCPRIM_400000_NS6detail17trampoline_kernelINS0_14default_configENS1_22reduce_config_selectorI18summary_stats_dataIfEEEZNS1_11reduce_implILb1ES3_PS6_S9_S6_23summary_stats_binary_opIfEEE10hipError_tPvRmT1_T2_T3_mT4_P12ihipStream_tbEUlT_E0_NS1_11comp_targetILNS1_3genE9ELNS1_11target_archE1100ELNS1_3gpuE3ELNS1_3repE0EEENS1_30default_config_static_selectorELNS0_4arch9wavefront6targetE1EEEvSF_: ; @_ZN7rocprim17ROCPRIM_400000_NS6detail17trampoline_kernelINS0_14default_configENS1_22reduce_config_selectorI18summary_stats_dataIfEEEZNS1_11reduce_implILb1ES3_PS6_S9_S6_23summary_stats_binary_opIfEEE10hipError_tPvRmT1_T2_T3_mT4_P12ihipStream_tbEUlT_E0_NS1_11comp_targetILNS1_3genE9ELNS1_11target_archE1100ELNS1_3gpuE3ELNS1_3repE0EEENS1_30default_config_static_selectorELNS0_4arch9wavefront6targetE1EEEvSF_
; %bb.0:
	.section	.rodata,"a",@progbits
	.p2align	6, 0x0
	.amdhsa_kernel _ZN7rocprim17ROCPRIM_400000_NS6detail17trampoline_kernelINS0_14default_configENS1_22reduce_config_selectorI18summary_stats_dataIfEEEZNS1_11reduce_implILb1ES3_PS6_S9_S6_23summary_stats_binary_opIfEEE10hipError_tPvRmT1_T2_T3_mT4_P12ihipStream_tbEUlT_E0_NS1_11comp_targetILNS1_3genE9ELNS1_11target_archE1100ELNS1_3gpuE3ELNS1_3repE0EEENS1_30default_config_static_selectorELNS0_4arch9wavefront6targetE1EEEvSF_
		.amdhsa_group_segment_fixed_size 0
		.amdhsa_private_segment_fixed_size 0
		.amdhsa_kernarg_size 80
		.amdhsa_user_sgpr_count 6
		.amdhsa_user_sgpr_private_segment_buffer 1
		.amdhsa_user_sgpr_dispatch_ptr 0
		.amdhsa_user_sgpr_queue_ptr 0
		.amdhsa_user_sgpr_kernarg_segment_ptr 1
		.amdhsa_user_sgpr_dispatch_id 0
		.amdhsa_user_sgpr_flat_scratch_init 0
		.amdhsa_user_sgpr_private_segment_size 0
		.amdhsa_uses_dynamic_stack 0
		.amdhsa_system_sgpr_private_segment_wavefront_offset 0
		.amdhsa_system_sgpr_workgroup_id_x 1
		.amdhsa_system_sgpr_workgroup_id_y 0
		.amdhsa_system_sgpr_workgroup_id_z 0
		.amdhsa_system_sgpr_workgroup_info 0
		.amdhsa_system_vgpr_workitem_id 0
		.amdhsa_next_free_vgpr 1
		.amdhsa_next_free_sgpr 0
		.amdhsa_reserve_vcc 0
		.amdhsa_reserve_flat_scratch 0
		.amdhsa_float_round_mode_32 0
		.amdhsa_float_round_mode_16_64 0
		.amdhsa_float_denorm_mode_32 3
		.amdhsa_float_denorm_mode_16_64 3
		.amdhsa_dx10_clamp 1
		.amdhsa_ieee_mode 1
		.amdhsa_fp16_overflow 0
		.amdhsa_exception_fp_ieee_invalid_op 0
		.amdhsa_exception_fp_denorm_src 0
		.amdhsa_exception_fp_ieee_div_zero 0
		.amdhsa_exception_fp_ieee_overflow 0
		.amdhsa_exception_fp_ieee_underflow 0
		.amdhsa_exception_fp_ieee_inexact 0
		.amdhsa_exception_int_div_zero 0
	.end_amdhsa_kernel
	.section	.text._ZN7rocprim17ROCPRIM_400000_NS6detail17trampoline_kernelINS0_14default_configENS1_22reduce_config_selectorI18summary_stats_dataIfEEEZNS1_11reduce_implILb1ES3_PS6_S9_S6_23summary_stats_binary_opIfEEE10hipError_tPvRmT1_T2_T3_mT4_P12ihipStream_tbEUlT_E0_NS1_11comp_targetILNS1_3genE9ELNS1_11target_archE1100ELNS1_3gpuE3ELNS1_3repE0EEENS1_30default_config_static_selectorELNS0_4arch9wavefront6targetE1EEEvSF_,"axG",@progbits,_ZN7rocprim17ROCPRIM_400000_NS6detail17trampoline_kernelINS0_14default_configENS1_22reduce_config_selectorI18summary_stats_dataIfEEEZNS1_11reduce_implILb1ES3_PS6_S9_S6_23summary_stats_binary_opIfEEE10hipError_tPvRmT1_T2_T3_mT4_P12ihipStream_tbEUlT_E0_NS1_11comp_targetILNS1_3genE9ELNS1_11target_archE1100ELNS1_3gpuE3ELNS1_3repE0EEENS1_30default_config_static_selectorELNS0_4arch9wavefront6targetE1EEEvSF_,comdat
.Lfunc_end7:
	.size	_ZN7rocprim17ROCPRIM_400000_NS6detail17trampoline_kernelINS0_14default_configENS1_22reduce_config_selectorI18summary_stats_dataIfEEEZNS1_11reduce_implILb1ES3_PS6_S9_S6_23summary_stats_binary_opIfEEE10hipError_tPvRmT1_T2_T3_mT4_P12ihipStream_tbEUlT_E0_NS1_11comp_targetILNS1_3genE9ELNS1_11target_archE1100ELNS1_3gpuE3ELNS1_3repE0EEENS1_30default_config_static_selectorELNS0_4arch9wavefront6targetE1EEEvSF_, .Lfunc_end7-_ZN7rocprim17ROCPRIM_400000_NS6detail17trampoline_kernelINS0_14default_configENS1_22reduce_config_selectorI18summary_stats_dataIfEEEZNS1_11reduce_implILb1ES3_PS6_S9_S6_23summary_stats_binary_opIfEEE10hipError_tPvRmT1_T2_T3_mT4_P12ihipStream_tbEUlT_E0_NS1_11comp_targetILNS1_3genE9ELNS1_11target_archE1100ELNS1_3gpuE3ELNS1_3repE0EEENS1_30default_config_static_selectorELNS0_4arch9wavefront6targetE1EEEvSF_
                                        ; -- End function
	.set _ZN7rocprim17ROCPRIM_400000_NS6detail17trampoline_kernelINS0_14default_configENS1_22reduce_config_selectorI18summary_stats_dataIfEEEZNS1_11reduce_implILb1ES3_PS6_S9_S6_23summary_stats_binary_opIfEEE10hipError_tPvRmT1_T2_T3_mT4_P12ihipStream_tbEUlT_E0_NS1_11comp_targetILNS1_3genE9ELNS1_11target_archE1100ELNS1_3gpuE3ELNS1_3repE0EEENS1_30default_config_static_selectorELNS0_4arch9wavefront6targetE1EEEvSF_.num_vgpr, 0
	.set _ZN7rocprim17ROCPRIM_400000_NS6detail17trampoline_kernelINS0_14default_configENS1_22reduce_config_selectorI18summary_stats_dataIfEEEZNS1_11reduce_implILb1ES3_PS6_S9_S6_23summary_stats_binary_opIfEEE10hipError_tPvRmT1_T2_T3_mT4_P12ihipStream_tbEUlT_E0_NS1_11comp_targetILNS1_3genE9ELNS1_11target_archE1100ELNS1_3gpuE3ELNS1_3repE0EEENS1_30default_config_static_selectorELNS0_4arch9wavefront6targetE1EEEvSF_.num_agpr, 0
	.set _ZN7rocprim17ROCPRIM_400000_NS6detail17trampoline_kernelINS0_14default_configENS1_22reduce_config_selectorI18summary_stats_dataIfEEEZNS1_11reduce_implILb1ES3_PS6_S9_S6_23summary_stats_binary_opIfEEE10hipError_tPvRmT1_T2_T3_mT4_P12ihipStream_tbEUlT_E0_NS1_11comp_targetILNS1_3genE9ELNS1_11target_archE1100ELNS1_3gpuE3ELNS1_3repE0EEENS1_30default_config_static_selectorELNS0_4arch9wavefront6targetE1EEEvSF_.numbered_sgpr, 0
	.set _ZN7rocprim17ROCPRIM_400000_NS6detail17trampoline_kernelINS0_14default_configENS1_22reduce_config_selectorI18summary_stats_dataIfEEEZNS1_11reduce_implILb1ES3_PS6_S9_S6_23summary_stats_binary_opIfEEE10hipError_tPvRmT1_T2_T3_mT4_P12ihipStream_tbEUlT_E0_NS1_11comp_targetILNS1_3genE9ELNS1_11target_archE1100ELNS1_3gpuE3ELNS1_3repE0EEENS1_30default_config_static_selectorELNS0_4arch9wavefront6targetE1EEEvSF_.num_named_barrier, 0
	.set _ZN7rocprim17ROCPRIM_400000_NS6detail17trampoline_kernelINS0_14default_configENS1_22reduce_config_selectorI18summary_stats_dataIfEEEZNS1_11reduce_implILb1ES3_PS6_S9_S6_23summary_stats_binary_opIfEEE10hipError_tPvRmT1_T2_T3_mT4_P12ihipStream_tbEUlT_E0_NS1_11comp_targetILNS1_3genE9ELNS1_11target_archE1100ELNS1_3gpuE3ELNS1_3repE0EEENS1_30default_config_static_selectorELNS0_4arch9wavefront6targetE1EEEvSF_.private_seg_size, 0
	.set _ZN7rocprim17ROCPRIM_400000_NS6detail17trampoline_kernelINS0_14default_configENS1_22reduce_config_selectorI18summary_stats_dataIfEEEZNS1_11reduce_implILb1ES3_PS6_S9_S6_23summary_stats_binary_opIfEEE10hipError_tPvRmT1_T2_T3_mT4_P12ihipStream_tbEUlT_E0_NS1_11comp_targetILNS1_3genE9ELNS1_11target_archE1100ELNS1_3gpuE3ELNS1_3repE0EEENS1_30default_config_static_selectorELNS0_4arch9wavefront6targetE1EEEvSF_.uses_vcc, 0
	.set _ZN7rocprim17ROCPRIM_400000_NS6detail17trampoline_kernelINS0_14default_configENS1_22reduce_config_selectorI18summary_stats_dataIfEEEZNS1_11reduce_implILb1ES3_PS6_S9_S6_23summary_stats_binary_opIfEEE10hipError_tPvRmT1_T2_T3_mT4_P12ihipStream_tbEUlT_E0_NS1_11comp_targetILNS1_3genE9ELNS1_11target_archE1100ELNS1_3gpuE3ELNS1_3repE0EEENS1_30default_config_static_selectorELNS0_4arch9wavefront6targetE1EEEvSF_.uses_flat_scratch, 0
	.set _ZN7rocprim17ROCPRIM_400000_NS6detail17trampoline_kernelINS0_14default_configENS1_22reduce_config_selectorI18summary_stats_dataIfEEEZNS1_11reduce_implILb1ES3_PS6_S9_S6_23summary_stats_binary_opIfEEE10hipError_tPvRmT1_T2_T3_mT4_P12ihipStream_tbEUlT_E0_NS1_11comp_targetILNS1_3genE9ELNS1_11target_archE1100ELNS1_3gpuE3ELNS1_3repE0EEENS1_30default_config_static_selectorELNS0_4arch9wavefront6targetE1EEEvSF_.has_dyn_sized_stack, 0
	.set _ZN7rocprim17ROCPRIM_400000_NS6detail17trampoline_kernelINS0_14default_configENS1_22reduce_config_selectorI18summary_stats_dataIfEEEZNS1_11reduce_implILb1ES3_PS6_S9_S6_23summary_stats_binary_opIfEEE10hipError_tPvRmT1_T2_T3_mT4_P12ihipStream_tbEUlT_E0_NS1_11comp_targetILNS1_3genE9ELNS1_11target_archE1100ELNS1_3gpuE3ELNS1_3repE0EEENS1_30default_config_static_selectorELNS0_4arch9wavefront6targetE1EEEvSF_.has_recursion, 0
	.set _ZN7rocprim17ROCPRIM_400000_NS6detail17trampoline_kernelINS0_14default_configENS1_22reduce_config_selectorI18summary_stats_dataIfEEEZNS1_11reduce_implILb1ES3_PS6_S9_S6_23summary_stats_binary_opIfEEE10hipError_tPvRmT1_T2_T3_mT4_P12ihipStream_tbEUlT_E0_NS1_11comp_targetILNS1_3genE9ELNS1_11target_archE1100ELNS1_3gpuE3ELNS1_3repE0EEENS1_30default_config_static_selectorELNS0_4arch9wavefront6targetE1EEEvSF_.has_indirect_call, 0
	.section	.AMDGPU.csdata,"",@progbits
; Kernel info:
; codeLenInByte = 0
; TotalNumSgprs: 4
; NumVgprs: 0
; ScratchSize: 0
; MemoryBound: 0
; FloatMode: 240
; IeeeMode: 1
; LDSByteSize: 0 bytes/workgroup (compile time only)
; SGPRBlocks: 0
; VGPRBlocks: 0
; NumSGPRsForWavesPerEU: 4
; NumVGPRsForWavesPerEU: 1
; Occupancy: 10
; WaveLimiterHint : 0
; COMPUTE_PGM_RSRC2:SCRATCH_EN: 0
; COMPUTE_PGM_RSRC2:USER_SGPR: 6
; COMPUTE_PGM_RSRC2:TRAP_HANDLER: 0
; COMPUTE_PGM_RSRC2:TGID_X_EN: 1
; COMPUTE_PGM_RSRC2:TGID_Y_EN: 0
; COMPUTE_PGM_RSRC2:TGID_Z_EN: 0
; COMPUTE_PGM_RSRC2:TIDIG_COMP_CNT: 0
	.section	.text._ZN7rocprim17ROCPRIM_400000_NS6detail17trampoline_kernelINS0_14default_configENS1_22reduce_config_selectorI18summary_stats_dataIfEEEZNS1_11reduce_implILb1ES3_PS6_S9_S6_23summary_stats_binary_opIfEEE10hipError_tPvRmT1_T2_T3_mT4_P12ihipStream_tbEUlT_E0_NS1_11comp_targetILNS1_3genE8ELNS1_11target_archE1030ELNS1_3gpuE2ELNS1_3repE0EEENS1_30default_config_static_selectorELNS0_4arch9wavefront6targetE1EEEvSF_,"axG",@progbits,_ZN7rocprim17ROCPRIM_400000_NS6detail17trampoline_kernelINS0_14default_configENS1_22reduce_config_selectorI18summary_stats_dataIfEEEZNS1_11reduce_implILb1ES3_PS6_S9_S6_23summary_stats_binary_opIfEEE10hipError_tPvRmT1_T2_T3_mT4_P12ihipStream_tbEUlT_E0_NS1_11comp_targetILNS1_3genE8ELNS1_11target_archE1030ELNS1_3gpuE2ELNS1_3repE0EEENS1_30default_config_static_selectorELNS0_4arch9wavefront6targetE1EEEvSF_,comdat
	.protected	_ZN7rocprim17ROCPRIM_400000_NS6detail17trampoline_kernelINS0_14default_configENS1_22reduce_config_selectorI18summary_stats_dataIfEEEZNS1_11reduce_implILb1ES3_PS6_S9_S6_23summary_stats_binary_opIfEEE10hipError_tPvRmT1_T2_T3_mT4_P12ihipStream_tbEUlT_E0_NS1_11comp_targetILNS1_3genE8ELNS1_11target_archE1030ELNS1_3gpuE2ELNS1_3repE0EEENS1_30default_config_static_selectorELNS0_4arch9wavefront6targetE1EEEvSF_ ; -- Begin function _ZN7rocprim17ROCPRIM_400000_NS6detail17trampoline_kernelINS0_14default_configENS1_22reduce_config_selectorI18summary_stats_dataIfEEEZNS1_11reduce_implILb1ES3_PS6_S9_S6_23summary_stats_binary_opIfEEE10hipError_tPvRmT1_T2_T3_mT4_P12ihipStream_tbEUlT_E0_NS1_11comp_targetILNS1_3genE8ELNS1_11target_archE1030ELNS1_3gpuE2ELNS1_3repE0EEENS1_30default_config_static_selectorELNS0_4arch9wavefront6targetE1EEEvSF_
	.globl	_ZN7rocprim17ROCPRIM_400000_NS6detail17trampoline_kernelINS0_14default_configENS1_22reduce_config_selectorI18summary_stats_dataIfEEEZNS1_11reduce_implILb1ES3_PS6_S9_S6_23summary_stats_binary_opIfEEE10hipError_tPvRmT1_T2_T3_mT4_P12ihipStream_tbEUlT_E0_NS1_11comp_targetILNS1_3genE8ELNS1_11target_archE1030ELNS1_3gpuE2ELNS1_3repE0EEENS1_30default_config_static_selectorELNS0_4arch9wavefront6targetE1EEEvSF_
	.p2align	8
	.type	_ZN7rocprim17ROCPRIM_400000_NS6detail17trampoline_kernelINS0_14default_configENS1_22reduce_config_selectorI18summary_stats_dataIfEEEZNS1_11reduce_implILb1ES3_PS6_S9_S6_23summary_stats_binary_opIfEEE10hipError_tPvRmT1_T2_T3_mT4_P12ihipStream_tbEUlT_E0_NS1_11comp_targetILNS1_3genE8ELNS1_11target_archE1030ELNS1_3gpuE2ELNS1_3repE0EEENS1_30default_config_static_selectorELNS0_4arch9wavefront6targetE1EEEvSF_,@function
_ZN7rocprim17ROCPRIM_400000_NS6detail17trampoline_kernelINS0_14default_configENS1_22reduce_config_selectorI18summary_stats_dataIfEEEZNS1_11reduce_implILb1ES3_PS6_S9_S6_23summary_stats_binary_opIfEEE10hipError_tPvRmT1_T2_T3_mT4_P12ihipStream_tbEUlT_E0_NS1_11comp_targetILNS1_3genE8ELNS1_11target_archE1030ELNS1_3gpuE2ELNS1_3repE0EEENS1_30default_config_static_selectorELNS0_4arch9wavefront6targetE1EEEvSF_: ; @_ZN7rocprim17ROCPRIM_400000_NS6detail17trampoline_kernelINS0_14default_configENS1_22reduce_config_selectorI18summary_stats_dataIfEEEZNS1_11reduce_implILb1ES3_PS6_S9_S6_23summary_stats_binary_opIfEEE10hipError_tPvRmT1_T2_T3_mT4_P12ihipStream_tbEUlT_E0_NS1_11comp_targetILNS1_3genE8ELNS1_11target_archE1030ELNS1_3gpuE2ELNS1_3repE0EEENS1_30default_config_static_selectorELNS0_4arch9wavefront6targetE1EEEvSF_
; %bb.0:
	.section	.rodata,"a",@progbits
	.p2align	6, 0x0
	.amdhsa_kernel _ZN7rocprim17ROCPRIM_400000_NS6detail17trampoline_kernelINS0_14default_configENS1_22reduce_config_selectorI18summary_stats_dataIfEEEZNS1_11reduce_implILb1ES3_PS6_S9_S6_23summary_stats_binary_opIfEEE10hipError_tPvRmT1_T2_T3_mT4_P12ihipStream_tbEUlT_E0_NS1_11comp_targetILNS1_3genE8ELNS1_11target_archE1030ELNS1_3gpuE2ELNS1_3repE0EEENS1_30default_config_static_selectorELNS0_4arch9wavefront6targetE1EEEvSF_
		.amdhsa_group_segment_fixed_size 0
		.amdhsa_private_segment_fixed_size 0
		.amdhsa_kernarg_size 80
		.amdhsa_user_sgpr_count 6
		.amdhsa_user_sgpr_private_segment_buffer 1
		.amdhsa_user_sgpr_dispatch_ptr 0
		.amdhsa_user_sgpr_queue_ptr 0
		.amdhsa_user_sgpr_kernarg_segment_ptr 1
		.amdhsa_user_sgpr_dispatch_id 0
		.amdhsa_user_sgpr_flat_scratch_init 0
		.amdhsa_user_sgpr_private_segment_size 0
		.amdhsa_uses_dynamic_stack 0
		.amdhsa_system_sgpr_private_segment_wavefront_offset 0
		.amdhsa_system_sgpr_workgroup_id_x 1
		.amdhsa_system_sgpr_workgroup_id_y 0
		.amdhsa_system_sgpr_workgroup_id_z 0
		.amdhsa_system_sgpr_workgroup_info 0
		.amdhsa_system_vgpr_workitem_id 0
		.amdhsa_next_free_vgpr 1
		.amdhsa_next_free_sgpr 0
		.amdhsa_reserve_vcc 0
		.amdhsa_reserve_flat_scratch 0
		.amdhsa_float_round_mode_32 0
		.amdhsa_float_round_mode_16_64 0
		.amdhsa_float_denorm_mode_32 3
		.amdhsa_float_denorm_mode_16_64 3
		.amdhsa_dx10_clamp 1
		.amdhsa_ieee_mode 1
		.amdhsa_fp16_overflow 0
		.amdhsa_exception_fp_ieee_invalid_op 0
		.amdhsa_exception_fp_denorm_src 0
		.amdhsa_exception_fp_ieee_div_zero 0
		.amdhsa_exception_fp_ieee_overflow 0
		.amdhsa_exception_fp_ieee_underflow 0
		.amdhsa_exception_fp_ieee_inexact 0
		.amdhsa_exception_int_div_zero 0
	.end_amdhsa_kernel
	.section	.text._ZN7rocprim17ROCPRIM_400000_NS6detail17trampoline_kernelINS0_14default_configENS1_22reduce_config_selectorI18summary_stats_dataIfEEEZNS1_11reduce_implILb1ES3_PS6_S9_S6_23summary_stats_binary_opIfEEE10hipError_tPvRmT1_T2_T3_mT4_P12ihipStream_tbEUlT_E0_NS1_11comp_targetILNS1_3genE8ELNS1_11target_archE1030ELNS1_3gpuE2ELNS1_3repE0EEENS1_30default_config_static_selectorELNS0_4arch9wavefront6targetE1EEEvSF_,"axG",@progbits,_ZN7rocprim17ROCPRIM_400000_NS6detail17trampoline_kernelINS0_14default_configENS1_22reduce_config_selectorI18summary_stats_dataIfEEEZNS1_11reduce_implILb1ES3_PS6_S9_S6_23summary_stats_binary_opIfEEE10hipError_tPvRmT1_T2_T3_mT4_P12ihipStream_tbEUlT_E0_NS1_11comp_targetILNS1_3genE8ELNS1_11target_archE1030ELNS1_3gpuE2ELNS1_3repE0EEENS1_30default_config_static_selectorELNS0_4arch9wavefront6targetE1EEEvSF_,comdat
.Lfunc_end8:
	.size	_ZN7rocprim17ROCPRIM_400000_NS6detail17trampoline_kernelINS0_14default_configENS1_22reduce_config_selectorI18summary_stats_dataIfEEEZNS1_11reduce_implILb1ES3_PS6_S9_S6_23summary_stats_binary_opIfEEE10hipError_tPvRmT1_T2_T3_mT4_P12ihipStream_tbEUlT_E0_NS1_11comp_targetILNS1_3genE8ELNS1_11target_archE1030ELNS1_3gpuE2ELNS1_3repE0EEENS1_30default_config_static_selectorELNS0_4arch9wavefront6targetE1EEEvSF_, .Lfunc_end8-_ZN7rocprim17ROCPRIM_400000_NS6detail17trampoline_kernelINS0_14default_configENS1_22reduce_config_selectorI18summary_stats_dataIfEEEZNS1_11reduce_implILb1ES3_PS6_S9_S6_23summary_stats_binary_opIfEEE10hipError_tPvRmT1_T2_T3_mT4_P12ihipStream_tbEUlT_E0_NS1_11comp_targetILNS1_3genE8ELNS1_11target_archE1030ELNS1_3gpuE2ELNS1_3repE0EEENS1_30default_config_static_selectorELNS0_4arch9wavefront6targetE1EEEvSF_
                                        ; -- End function
	.set _ZN7rocprim17ROCPRIM_400000_NS6detail17trampoline_kernelINS0_14default_configENS1_22reduce_config_selectorI18summary_stats_dataIfEEEZNS1_11reduce_implILb1ES3_PS6_S9_S6_23summary_stats_binary_opIfEEE10hipError_tPvRmT1_T2_T3_mT4_P12ihipStream_tbEUlT_E0_NS1_11comp_targetILNS1_3genE8ELNS1_11target_archE1030ELNS1_3gpuE2ELNS1_3repE0EEENS1_30default_config_static_selectorELNS0_4arch9wavefront6targetE1EEEvSF_.num_vgpr, 0
	.set _ZN7rocprim17ROCPRIM_400000_NS6detail17trampoline_kernelINS0_14default_configENS1_22reduce_config_selectorI18summary_stats_dataIfEEEZNS1_11reduce_implILb1ES3_PS6_S9_S6_23summary_stats_binary_opIfEEE10hipError_tPvRmT1_T2_T3_mT4_P12ihipStream_tbEUlT_E0_NS1_11comp_targetILNS1_3genE8ELNS1_11target_archE1030ELNS1_3gpuE2ELNS1_3repE0EEENS1_30default_config_static_selectorELNS0_4arch9wavefront6targetE1EEEvSF_.num_agpr, 0
	.set _ZN7rocprim17ROCPRIM_400000_NS6detail17trampoline_kernelINS0_14default_configENS1_22reduce_config_selectorI18summary_stats_dataIfEEEZNS1_11reduce_implILb1ES3_PS6_S9_S6_23summary_stats_binary_opIfEEE10hipError_tPvRmT1_T2_T3_mT4_P12ihipStream_tbEUlT_E0_NS1_11comp_targetILNS1_3genE8ELNS1_11target_archE1030ELNS1_3gpuE2ELNS1_3repE0EEENS1_30default_config_static_selectorELNS0_4arch9wavefront6targetE1EEEvSF_.numbered_sgpr, 0
	.set _ZN7rocprim17ROCPRIM_400000_NS6detail17trampoline_kernelINS0_14default_configENS1_22reduce_config_selectorI18summary_stats_dataIfEEEZNS1_11reduce_implILb1ES3_PS6_S9_S6_23summary_stats_binary_opIfEEE10hipError_tPvRmT1_T2_T3_mT4_P12ihipStream_tbEUlT_E0_NS1_11comp_targetILNS1_3genE8ELNS1_11target_archE1030ELNS1_3gpuE2ELNS1_3repE0EEENS1_30default_config_static_selectorELNS0_4arch9wavefront6targetE1EEEvSF_.num_named_barrier, 0
	.set _ZN7rocprim17ROCPRIM_400000_NS6detail17trampoline_kernelINS0_14default_configENS1_22reduce_config_selectorI18summary_stats_dataIfEEEZNS1_11reduce_implILb1ES3_PS6_S9_S6_23summary_stats_binary_opIfEEE10hipError_tPvRmT1_T2_T3_mT4_P12ihipStream_tbEUlT_E0_NS1_11comp_targetILNS1_3genE8ELNS1_11target_archE1030ELNS1_3gpuE2ELNS1_3repE0EEENS1_30default_config_static_selectorELNS0_4arch9wavefront6targetE1EEEvSF_.private_seg_size, 0
	.set _ZN7rocprim17ROCPRIM_400000_NS6detail17trampoline_kernelINS0_14default_configENS1_22reduce_config_selectorI18summary_stats_dataIfEEEZNS1_11reduce_implILb1ES3_PS6_S9_S6_23summary_stats_binary_opIfEEE10hipError_tPvRmT1_T2_T3_mT4_P12ihipStream_tbEUlT_E0_NS1_11comp_targetILNS1_3genE8ELNS1_11target_archE1030ELNS1_3gpuE2ELNS1_3repE0EEENS1_30default_config_static_selectorELNS0_4arch9wavefront6targetE1EEEvSF_.uses_vcc, 0
	.set _ZN7rocprim17ROCPRIM_400000_NS6detail17trampoline_kernelINS0_14default_configENS1_22reduce_config_selectorI18summary_stats_dataIfEEEZNS1_11reduce_implILb1ES3_PS6_S9_S6_23summary_stats_binary_opIfEEE10hipError_tPvRmT1_T2_T3_mT4_P12ihipStream_tbEUlT_E0_NS1_11comp_targetILNS1_3genE8ELNS1_11target_archE1030ELNS1_3gpuE2ELNS1_3repE0EEENS1_30default_config_static_selectorELNS0_4arch9wavefront6targetE1EEEvSF_.uses_flat_scratch, 0
	.set _ZN7rocprim17ROCPRIM_400000_NS6detail17trampoline_kernelINS0_14default_configENS1_22reduce_config_selectorI18summary_stats_dataIfEEEZNS1_11reduce_implILb1ES3_PS6_S9_S6_23summary_stats_binary_opIfEEE10hipError_tPvRmT1_T2_T3_mT4_P12ihipStream_tbEUlT_E0_NS1_11comp_targetILNS1_3genE8ELNS1_11target_archE1030ELNS1_3gpuE2ELNS1_3repE0EEENS1_30default_config_static_selectorELNS0_4arch9wavefront6targetE1EEEvSF_.has_dyn_sized_stack, 0
	.set _ZN7rocprim17ROCPRIM_400000_NS6detail17trampoline_kernelINS0_14default_configENS1_22reduce_config_selectorI18summary_stats_dataIfEEEZNS1_11reduce_implILb1ES3_PS6_S9_S6_23summary_stats_binary_opIfEEE10hipError_tPvRmT1_T2_T3_mT4_P12ihipStream_tbEUlT_E0_NS1_11comp_targetILNS1_3genE8ELNS1_11target_archE1030ELNS1_3gpuE2ELNS1_3repE0EEENS1_30default_config_static_selectorELNS0_4arch9wavefront6targetE1EEEvSF_.has_recursion, 0
	.set _ZN7rocprim17ROCPRIM_400000_NS6detail17trampoline_kernelINS0_14default_configENS1_22reduce_config_selectorI18summary_stats_dataIfEEEZNS1_11reduce_implILb1ES3_PS6_S9_S6_23summary_stats_binary_opIfEEE10hipError_tPvRmT1_T2_T3_mT4_P12ihipStream_tbEUlT_E0_NS1_11comp_targetILNS1_3genE8ELNS1_11target_archE1030ELNS1_3gpuE2ELNS1_3repE0EEENS1_30default_config_static_selectorELNS0_4arch9wavefront6targetE1EEEvSF_.has_indirect_call, 0
	.section	.AMDGPU.csdata,"",@progbits
; Kernel info:
; codeLenInByte = 0
; TotalNumSgprs: 4
; NumVgprs: 0
; ScratchSize: 0
; MemoryBound: 0
; FloatMode: 240
; IeeeMode: 1
; LDSByteSize: 0 bytes/workgroup (compile time only)
; SGPRBlocks: 0
; VGPRBlocks: 0
; NumSGPRsForWavesPerEU: 4
; NumVGPRsForWavesPerEU: 1
; Occupancy: 10
; WaveLimiterHint : 0
; COMPUTE_PGM_RSRC2:SCRATCH_EN: 0
; COMPUTE_PGM_RSRC2:USER_SGPR: 6
; COMPUTE_PGM_RSRC2:TRAP_HANDLER: 0
; COMPUTE_PGM_RSRC2:TGID_X_EN: 1
; COMPUTE_PGM_RSRC2:TGID_Y_EN: 0
; COMPUTE_PGM_RSRC2:TGID_Z_EN: 0
; COMPUTE_PGM_RSRC2:TIDIG_COMP_CNT: 0
	.section	.text._ZN7rocprim17ROCPRIM_400000_NS6detail17trampoline_kernelINS0_14default_configENS1_22reduce_config_selectorI18summary_stats_dataIfEEEZNS1_11reduce_implILb1ES3_PS6_S9_S6_23summary_stats_binary_opIfEEE10hipError_tPvRmT1_T2_T3_mT4_P12ihipStream_tbEUlT_E1_NS1_11comp_targetILNS1_3genE0ELNS1_11target_archE4294967295ELNS1_3gpuE0ELNS1_3repE0EEENS1_30default_config_static_selectorELNS0_4arch9wavefront6targetE1EEEvSF_,"axG",@progbits,_ZN7rocprim17ROCPRIM_400000_NS6detail17trampoline_kernelINS0_14default_configENS1_22reduce_config_selectorI18summary_stats_dataIfEEEZNS1_11reduce_implILb1ES3_PS6_S9_S6_23summary_stats_binary_opIfEEE10hipError_tPvRmT1_T2_T3_mT4_P12ihipStream_tbEUlT_E1_NS1_11comp_targetILNS1_3genE0ELNS1_11target_archE4294967295ELNS1_3gpuE0ELNS1_3repE0EEENS1_30default_config_static_selectorELNS0_4arch9wavefront6targetE1EEEvSF_,comdat
	.protected	_ZN7rocprim17ROCPRIM_400000_NS6detail17trampoline_kernelINS0_14default_configENS1_22reduce_config_selectorI18summary_stats_dataIfEEEZNS1_11reduce_implILb1ES3_PS6_S9_S6_23summary_stats_binary_opIfEEE10hipError_tPvRmT1_T2_T3_mT4_P12ihipStream_tbEUlT_E1_NS1_11comp_targetILNS1_3genE0ELNS1_11target_archE4294967295ELNS1_3gpuE0ELNS1_3repE0EEENS1_30default_config_static_selectorELNS0_4arch9wavefront6targetE1EEEvSF_ ; -- Begin function _ZN7rocprim17ROCPRIM_400000_NS6detail17trampoline_kernelINS0_14default_configENS1_22reduce_config_selectorI18summary_stats_dataIfEEEZNS1_11reduce_implILb1ES3_PS6_S9_S6_23summary_stats_binary_opIfEEE10hipError_tPvRmT1_T2_T3_mT4_P12ihipStream_tbEUlT_E1_NS1_11comp_targetILNS1_3genE0ELNS1_11target_archE4294967295ELNS1_3gpuE0ELNS1_3repE0EEENS1_30default_config_static_selectorELNS0_4arch9wavefront6targetE1EEEvSF_
	.globl	_ZN7rocprim17ROCPRIM_400000_NS6detail17trampoline_kernelINS0_14default_configENS1_22reduce_config_selectorI18summary_stats_dataIfEEEZNS1_11reduce_implILb1ES3_PS6_S9_S6_23summary_stats_binary_opIfEEE10hipError_tPvRmT1_T2_T3_mT4_P12ihipStream_tbEUlT_E1_NS1_11comp_targetILNS1_3genE0ELNS1_11target_archE4294967295ELNS1_3gpuE0ELNS1_3repE0EEENS1_30default_config_static_selectorELNS0_4arch9wavefront6targetE1EEEvSF_
	.p2align	8
	.type	_ZN7rocprim17ROCPRIM_400000_NS6detail17trampoline_kernelINS0_14default_configENS1_22reduce_config_selectorI18summary_stats_dataIfEEEZNS1_11reduce_implILb1ES3_PS6_S9_S6_23summary_stats_binary_opIfEEE10hipError_tPvRmT1_T2_T3_mT4_P12ihipStream_tbEUlT_E1_NS1_11comp_targetILNS1_3genE0ELNS1_11target_archE4294967295ELNS1_3gpuE0ELNS1_3repE0EEENS1_30default_config_static_selectorELNS0_4arch9wavefront6targetE1EEEvSF_,@function
_ZN7rocprim17ROCPRIM_400000_NS6detail17trampoline_kernelINS0_14default_configENS1_22reduce_config_selectorI18summary_stats_dataIfEEEZNS1_11reduce_implILb1ES3_PS6_S9_S6_23summary_stats_binary_opIfEEE10hipError_tPvRmT1_T2_T3_mT4_P12ihipStream_tbEUlT_E1_NS1_11comp_targetILNS1_3genE0ELNS1_11target_archE4294967295ELNS1_3gpuE0ELNS1_3repE0EEENS1_30default_config_static_selectorELNS0_4arch9wavefront6targetE1EEEvSF_: ; @_ZN7rocprim17ROCPRIM_400000_NS6detail17trampoline_kernelINS0_14default_configENS1_22reduce_config_selectorI18summary_stats_dataIfEEEZNS1_11reduce_implILb1ES3_PS6_S9_S6_23summary_stats_binary_opIfEEE10hipError_tPvRmT1_T2_T3_mT4_P12ihipStream_tbEUlT_E1_NS1_11comp_targetILNS1_3genE0ELNS1_11target_archE4294967295ELNS1_3gpuE0ELNS1_3repE0EEENS1_30default_config_static_selectorELNS0_4arch9wavefront6targetE1EEEvSF_
; %bb.0:
	.section	.rodata,"a",@progbits
	.p2align	6, 0x0
	.amdhsa_kernel _ZN7rocprim17ROCPRIM_400000_NS6detail17trampoline_kernelINS0_14default_configENS1_22reduce_config_selectorI18summary_stats_dataIfEEEZNS1_11reduce_implILb1ES3_PS6_S9_S6_23summary_stats_binary_opIfEEE10hipError_tPvRmT1_T2_T3_mT4_P12ihipStream_tbEUlT_E1_NS1_11comp_targetILNS1_3genE0ELNS1_11target_archE4294967295ELNS1_3gpuE0ELNS1_3repE0EEENS1_30default_config_static_selectorELNS0_4arch9wavefront6targetE1EEEvSF_
		.amdhsa_group_segment_fixed_size 0
		.amdhsa_private_segment_fixed_size 0
		.amdhsa_kernarg_size 64
		.amdhsa_user_sgpr_count 6
		.amdhsa_user_sgpr_private_segment_buffer 1
		.amdhsa_user_sgpr_dispatch_ptr 0
		.amdhsa_user_sgpr_queue_ptr 0
		.amdhsa_user_sgpr_kernarg_segment_ptr 1
		.amdhsa_user_sgpr_dispatch_id 0
		.amdhsa_user_sgpr_flat_scratch_init 0
		.amdhsa_user_sgpr_private_segment_size 0
		.amdhsa_uses_dynamic_stack 0
		.amdhsa_system_sgpr_private_segment_wavefront_offset 0
		.amdhsa_system_sgpr_workgroup_id_x 1
		.amdhsa_system_sgpr_workgroup_id_y 0
		.amdhsa_system_sgpr_workgroup_id_z 0
		.amdhsa_system_sgpr_workgroup_info 0
		.amdhsa_system_vgpr_workitem_id 0
		.amdhsa_next_free_vgpr 1
		.amdhsa_next_free_sgpr 0
		.amdhsa_reserve_vcc 0
		.amdhsa_reserve_flat_scratch 0
		.amdhsa_float_round_mode_32 0
		.amdhsa_float_round_mode_16_64 0
		.amdhsa_float_denorm_mode_32 3
		.amdhsa_float_denorm_mode_16_64 3
		.amdhsa_dx10_clamp 1
		.amdhsa_ieee_mode 1
		.amdhsa_fp16_overflow 0
		.amdhsa_exception_fp_ieee_invalid_op 0
		.amdhsa_exception_fp_denorm_src 0
		.amdhsa_exception_fp_ieee_div_zero 0
		.amdhsa_exception_fp_ieee_overflow 0
		.amdhsa_exception_fp_ieee_underflow 0
		.amdhsa_exception_fp_ieee_inexact 0
		.amdhsa_exception_int_div_zero 0
	.end_amdhsa_kernel
	.section	.text._ZN7rocprim17ROCPRIM_400000_NS6detail17trampoline_kernelINS0_14default_configENS1_22reduce_config_selectorI18summary_stats_dataIfEEEZNS1_11reduce_implILb1ES3_PS6_S9_S6_23summary_stats_binary_opIfEEE10hipError_tPvRmT1_T2_T3_mT4_P12ihipStream_tbEUlT_E1_NS1_11comp_targetILNS1_3genE0ELNS1_11target_archE4294967295ELNS1_3gpuE0ELNS1_3repE0EEENS1_30default_config_static_selectorELNS0_4arch9wavefront6targetE1EEEvSF_,"axG",@progbits,_ZN7rocprim17ROCPRIM_400000_NS6detail17trampoline_kernelINS0_14default_configENS1_22reduce_config_selectorI18summary_stats_dataIfEEEZNS1_11reduce_implILb1ES3_PS6_S9_S6_23summary_stats_binary_opIfEEE10hipError_tPvRmT1_T2_T3_mT4_P12ihipStream_tbEUlT_E1_NS1_11comp_targetILNS1_3genE0ELNS1_11target_archE4294967295ELNS1_3gpuE0ELNS1_3repE0EEENS1_30default_config_static_selectorELNS0_4arch9wavefront6targetE1EEEvSF_,comdat
.Lfunc_end9:
	.size	_ZN7rocprim17ROCPRIM_400000_NS6detail17trampoline_kernelINS0_14default_configENS1_22reduce_config_selectorI18summary_stats_dataIfEEEZNS1_11reduce_implILb1ES3_PS6_S9_S6_23summary_stats_binary_opIfEEE10hipError_tPvRmT1_T2_T3_mT4_P12ihipStream_tbEUlT_E1_NS1_11comp_targetILNS1_3genE0ELNS1_11target_archE4294967295ELNS1_3gpuE0ELNS1_3repE0EEENS1_30default_config_static_selectorELNS0_4arch9wavefront6targetE1EEEvSF_, .Lfunc_end9-_ZN7rocprim17ROCPRIM_400000_NS6detail17trampoline_kernelINS0_14default_configENS1_22reduce_config_selectorI18summary_stats_dataIfEEEZNS1_11reduce_implILb1ES3_PS6_S9_S6_23summary_stats_binary_opIfEEE10hipError_tPvRmT1_T2_T3_mT4_P12ihipStream_tbEUlT_E1_NS1_11comp_targetILNS1_3genE0ELNS1_11target_archE4294967295ELNS1_3gpuE0ELNS1_3repE0EEENS1_30default_config_static_selectorELNS0_4arch9wavefront6targetE1EEEvSF_
                                        ; -- End function
	.set _ZN7rocprim17ROCPRIM_400000_NS6detail17trampoline_kernelINS0_14default_configENS1_22reduce_config_selectorI18summary_stats_dataIfEEEZNS1_11reduce_implILb1ES3_PS6_S9_S6_23summary_stats_binary_opIfEEE10hipError_tPvRmT1_T2_T3_mT4_P12ihipStream_tbEUlT_E1_NS1_11comp_targetILNS1_3genE0ELNS1_11target_archE4294967295ELNS1_3gpuE0ELNS1_3repE0EEENS1_30default_config_static_selectorELNS0_4arch9wavefront6targetE1EEEvSF_.num_vgpr, 0
	.set _ZN7rocprim17ROCPRIM_400000_NS6detail17trampoline_kernelINS0_14default_configENS1_22reduce_config_selectorI18summary_stats_dataIfEEEZNS1_11reduce_implILb1ES3_PS6_S9_S6_23summary_stats_binary_opIfEEE10hipError_tPvRmT1_T2_T3_mT4_P12ihipStream_tbEUlT_E1_NS1_11comp_targetILNS1_3genE0ELNS1_11target_archE4294967295ELNS1_3gpuE0ELNS1_3repE0EEENS1_30default_config_static_selectorELNS0_4arch9wavefront6targetE1EEEvSF_.num_agpr, 0
	.set _ZN7rocprim17ROCPRIM_400000_NS6detail17trampoline_kernelINS0_14default_configENS1_22reduce_config_selectorI18summary_stats_dataIfEEEZNS1_11reduce_implILb1ES3_PS6_S9_S6_23summary_stats_binary_opIfEEE10hipError_tPvRmT1_T2_T3_mT4_P12ihipStream_tbEUlT_E1_NS1_11comp_targetILNS1_3genE0ELNS1_11target_archE4294967295ELNS1_3gpuE0ELNS1_3repE0EEENS1_30default_config_static_selectorELNS0_4arch9wavefront6targetE1EEEvSF_.numbered_sgpr, 0
	.set _ZN7rocprim17ROCPRIM_400000_NS6detail17trampoline_kernelINS0_14default_configENS1_22reduce_config_selectorI18summary_stats_dataIfEEEZNS1_11reduce_implILb1ES3_PS6_S9_S6_23summary_stats_binary_opIfEEE10hipError_tPvRmT1_T2_T3_mT4_P12ihipStream_tbEUlT_E1_NS1_11comp_targetILNS1_3genE0ELNS1_11target_archE4294967295ELNS1_3gpuE0ELNS1_3repE0EEENS1_30default_config_static_selectorELNS0_4arch9wavefront6targetE1EEEvSF_.num_named_barrier, 0
	.set _ZN7rocprim17ROCPRIM_400000_NS6detail17trampoline_kernelINS0_14default_configENS1_22reduce_config_selectorI18summary_stats_dataIfEEEZNS1_11reduce_implILb1ES3_PS6_S9_S6_23summary_stats_binary_opIfEEE10hipError_tPvRmT1_T2_T3_mT4_P12ihipStream_tbEUlT_E1_NS1_11comp_targetILNS1_3genE0ELNS1_11target_archE4294967295ELNS1_3gpuE0ELNS1_3repE0EEENS1_30default_config_static_selectorELNS0_4arch9wavefront6targetE1EEEvSF_.private_seg_size, 0
	.set _ZN7rocprim17ROCPRIM_400000_NS6detail17trampoline_kernelINS0_14default_configENS1_22reduce_config_selectorI18summary_stats_dataIfEEEZNS1_11reduce_implILb1ES3_PS6_S9_S6_23summary_stats_binary_opIfEEE10hipError_tPvRmT1_T2_T3_mT4_P12ihipStream_tbEUlT_E1_NS1_11comp_targetILNS1_3genE0ELNS1_11target_archE4294967295ELNS1_3gpuE0ELNS1_3repE0EEENS1_30default_config_static_selectorELNS0_4arch9wavefront6targetE1EEEvSF_.uses_vcc, 0
	.set _ZN7rocprim17ROCPRIM_400000_NS6detail17trampoline_kernelINS0_14default_configENS1_22reduce_config_selectorI18summary_stats_dataIfEEEZNS1_11reduce_implILb1ES3_PS6_S9_S6_23summary_stats_binary_opIfEEE10hipError_tPvRmT1_T2_T3_mT4_P12ihipStream_tbEUlT_E1_NS1_11comp_targetILNS1_3genE0ELNS1_11target_archE4294967295ELNS1_3gpuE0ELNS1_3repE0EEENS1_30default_config_static_selectorELNS0_4arch9wavefront6targetE1EEEvSF_.uses_flat_scratch, 0
	.set _ZN7rocprim17ROCPRIM_400000_NS6detail17trampoline_kernelINS0_14default_configENS1_22reduce_config_selectorI18summary_stats_dataIfEEEZNS1_11reduce_implILb1ES3_PS6_S9_S6_23summary_stats_binary_opIfEEE10hipError_tPvRmT1_T2_T3_mT4_P12ihipStream_tbEUlT_E1_NS1_11comp_targetILNS1_3genE0ELNS1_11target_archE4294967295ELNS1_3gpuE0ELNS1_3repE0EEENS1_30default_config_static_selectorELNS0_4arch9wavefront6targetE1EEEvSF_.has_dyn_sized_stack, 0
	.set _ZN7rocprim17ROCPRIM_400000_NS6detail17trampoline_kernelINS0_14default_configENS1_22reduce_config_selectorI18summary_stats_dataIfEEEZNS1_11reduce_implILb1ES3_PS6_S9_S6_23summary_stats_binary_opIfEEE10hipError_tPvRmT1_T2_T3_mT4_P12ihipStream_tbEUlT_E1_NS1_11comp_targetILNS1_3genE0ELNS1_11target_archE4294967295ELNS1_3gpuE0ELNS1_3repE0EEENS1_30default_config_static_selectorELNS0_4arch9wavefront6targetE1EEEvSF_.has_recursion, 0
	.set _ZN7rocprim17ROCPRIM_400000_NS6detail17trampoline_kernelINS0_14default_configENS1_22reduce_config_selectorI18summary_stats_dataIfEEEZNS1_11reduce_implILb1ES3_PS6_S9_S6_23summary_stats_binary_opIfEEE10hipError_tPvRmT1_T2_T3_mT4_P12ihipStream_tbEUlT_E1_NS1_11comp_targetILNS1_3genE0ELNS1_11target_archE4294967295ELNS1_3gpuE0ELNS1_3repE0EEENS1_30default_config_static_selectorELNS0_4arch9wavefront6targetE1EEEvSF_.has_indirect_call, 0
	.section	.AMDGPU.csdata,"",@progbits
; Kernel info:
; codeLenInByte = 0
; TotalNumSgprs: 4
; NumVgprs: 0
; ScratchSize: 0
; MemoryBound: 0
; FloatMode: 240
; IeeeMode: 1
; LDSByteSize: 0 bytes/workgroup (compile time only)
; SGPRBlocks: 0
; VGPRBlocks: 0
; NumSGPRsForWavesPerEU: 4
; NumVGPRsForWavesPerEU: 1
; Occupancy: 10
; WaveLimiterHint : 0
; COMPUTE_PGM_RSRC2:SCRATCH_EN: 0
; COMPUTE_PGM_RSRC2:USER_SGPR: 6
; COMPUTE_PGM_RSRC2:TRAP_HANDLER: 0
; COMPUTE_PGM_RSRC2:TGID_X_EN: 1
; COMPUTE_PGM_RSRC2:TGID_Y_EN: 0
; COMPUTE_PGM_RSRC2:TGID_Z_EN: 0
; COMPUTE_PGM_RSRC2:TIDIG_COMP_CNT: 0
	.section	.text._ZN7rocprim17ROCPRIM_400000_NS6detail17trampoline_kernelINS0_14default_configENS1_22reduce_config_selectorI18summary_stats_dataIfEEEZNS1_11reduce_implILb1ES3_PS6_S9_S6_23summary_stats_binary_opIfEEE10hipError_tPvRmT1_T2_T3_mT4_P12ihipStream_tbEUlT_E1_NS1_11comp_targetILNS1_3genE5ELNS1_11target_archE942ELNS1_3gpuE9ELNS1_3repE0EEENS1_30default_config_static_selectorELNS0_4arch9wavefront6targetE1EEEvSF_,"axG",@progbits,_ZN7rocprim17ROCPRIM_400000_NS6detail17trampoline_kernelINS0_14default_configENS1_22reduce_config_selectorI18summary_stats_dataIfEEEZNS1_11reduce_implILb1ES3_PS6_S9_S6_23summary_stats_binary_opIfEEE10hipError_tPvRmT1_T2_T3_mT4_P12ihipStream_tbEUlT_E1_NS1_11comp_targetILNS1_3genE5ELNS1_11target_archE942ELNS1_3gpuE9ELNS1_3repE0EEENS1_30default_config_static_selectorELNS0_4arch9wavefront6targetE1EEEvSF_,comdat
	.protected	_ZN7rocprim17ROCPRIM_400000_NS6detail17trampoline_kernelINS0_14default_configENS1_22reduce_config_selectorI18summary_stats_dataIfEEEZNS1_11reduce_implILb1ES3_PS6_S9_S6_23summary_stats_binary_opIfEEE10hipError_tPvRmT1_T2_T3_mT4_P12ihipStream_tbEUlT_E1_NS1_11comp_targetILNS1_3genE5ELNS1_11target_archE942ELNS1_3gpuE9ELNS1_3repE0EEENS1_30default_config_static_selectorELNS0_4arch9wavefront6targetE1EEEvSF_ ; -- Begin function _ZN7rocprim17ROCPRIM_400000_NS6detail17trampoline_kernelINS0_14default_configENS1_22reduce_config_selectorI18summary_stats_dataIfEEEZNS1_11reduce_implILb1ES3_PS6_S9_S6_23summary_stats_binary_opIfEEE10hipError_tPvRmT1_T2_T3_mT4_P12ihipStream_tbEUlT_E1_NS1_11comp_targetILNS1_3genE5ELNS1_11target_archE942ELNS1_3gpuE9ELNS1_3repE0EEENS1_30default_config_static_selectorELNS0_4arch9wavefront6targetE1EEEvSF_
	.globl	_ZN7rocprim17ROCPRIM_400000_NS6detail17trampoline_kernelINS0_14default_configENS1_22reduce_config_selectorI18summary_stats_dataIfEEEZNS1_11reduce_implILb1ES3_PS6_S9_S6_23summary_stats_binary_opIfEEE10hipError_tPvRmT1_T2_T3_mT4_P12ihipStream_tbEUlT_E1_NS1_11comp_targetILNS1_3genE5ELNS1_11target_archE942ELNS1_3gpuE9ELNS1_3repE0EEENS1_30default_config_static_selectorELNS0_4arch9wavefront6targetE1EEEvSF_
	.p2align	8
	.type	_ZN7rocprim17ROCPRIM_400000_NS6detail17trampoline_kernelINS0_14default_configENS1_22reduce_config_selectorI18summary_stats_dataIfEEEZNS1_11reduce_implILb1ES3_PS6_S9_S6_23summary_stats_binary_opIfEEE10hipError_tPvRmT1_T2_T3_mT4_P12ihipStream_tbEUlT_E1_NS1_11comp_targetILNS1_3genE5ELNS1_11target_archE942ELNS1_3gpuE9ELNS1_3repE0EEENS1_30default_config_static_selectorELNS0_4arch9wavefront6targetE1EEEvSF_,@function
_ZN7rocprim17ROCPRIM_400000_NS6detail17trampoline_kernelINS0_14default_configENS1_22reduce_config_selectorI18summary_stats_dataIfEEEZNS1_11reduce_implILb1ES3_PS6_S9_S6_23summary_stats_binary_opIfEEE10hipError_tPvRmT1_T2_T3_mT4_P12ihipStream_tbEUlT_E1_NS1_11comp_targetILNS1_3genE5ELNS1_11target_archE942ELNS1_3gpuE9ELNS1_3repE0EEENS1_30default_config_static_selectorELNS0_4arch9wavefront6targetE1EEEvSF_: ; @_ZN7rocprim17ROCPRIM_400000_NS6detail17trampoline_kernelINS0_14default_configENS1_22reduce_config_selectorI18summary_stats_dataIfEEEZNS1_11reduce_implILb1ES3_PS6_S9_S6_23summary_stats_binary_opIfEEE10hipError_tPvRmT1_T2_T3_mT4_P12ihipStream_tbEUlT_E1_NS1_11comp_targetILNS1_3genE5ELNS1_11target_archE942ELNS1_3gpuE9ELNS1_3repE0EEENS1_30default_config_static_selectorELNS0_4arch9wavefront6targetE1EEEvSF_
; %bb.0:
	.section	.rodata,"a",@progbits
	.p2align	6, 0x0
	.amdhsa_kernel _ZN7rocprim17ROCPRIM_400000_NS6detail17trampoline_kernelINS0_14default_configENS1_22reduce_config_selectorI18summary_stats_dataIfEEEZNS1_11reduce_implILb1ES3_PS6_S9_S6_23summary_stats_binary_opIfEEE10hipError_tPvRmT1_T2_T3_mT4_P12ihipStream_tbEUlT_E1_NS1_11comp_targetILNS1_3genE5ELNS1_11target_archE942ELNS1_3gpuE9ELNS1_3repE0EEENS1_30default_config_static_selectorELNS0_4arch9wavefront6targetE1EEEvSF_
		.amdhsa_group_segment_fixed_size 0
		.amdhsa_private_segment_fixed_size 0
		.amdhsa_kernarg_size 64
		.amdhsa_user_sgpr_count 6
		.amdhsa_user_sgpr_private_segment_buffer 1
		.amdhsa_user_sgpr_dispatch_ptr 0
		.amdhsa_user_sgpr_queue_ptr 0
		.amdhsa_user_sgpr_kernarg_segment_ptr 1
		.amdhsa_user_sgpr_dispatch_id 0
		.amdhsa_user_sgpr_flat_scratch_init 0
		.amdhsa_user_sgpr_private_segment_size 0
		.amdhsa_uses_dynamic_stack 0
		.amdhsa_system_sgpr_private_segment_wavefront_offset 0
		.amdhsa_system_sgpr_workgroup_id_x 1
		.amdhsa_system_sgpr_workgroup_id_y 0
		.amdhsa_system_sgpr_workgroup_id_z 0
		.amdhsa_system_sgpr_workgroup_info 0
		.amdhsa_system_vgpr_workitem_id 0
		.amdhsa_next_free_vgpr 1
		.amdhsa_next_free_sgpr 0
		.amdhsa_reserve_vcc 0
		.amdhsa_reserve_flat_scratch 0
		.amdhsa_float_round_mode_32 0
		.amdhsa_float_round_mode_16_64 0
		.amdhsa_float_denorm_mode_32 3
		.amdhsa_float_denorm_mode_16_64 3
		.amdhsa_dx10_clamp 1
		.amdhsa_ieee_mode 1
		.amdhsa_fp16_overflow 0
		.amdhsa_exception_fp_ieee_invalid_op 0
		.amdhsa_exception_fp_denorm_src 0
		.amdhsa_exception_fp_ieee_div_zero 0
		.amdhsa_exception_fp_ieee_overflow 0
		.amdhsa_exception_fp_ieee_underflow 0
		.amdhsa_exception_fp_ieee_inexact 0
		.amdhsa_exception_int_div_zero 0
	.end_amdhsa_kernel
	.section	.text._ZN7rocprim17ROCPRIM_400000_NS6detail17trampoline_kernelINS0_14default_configENS1_22reduce_config_selectorI18summary_stats_dataIfEEEZNS1_11reduce_implILb1ES3_PS6_S9_S6_23summary_stats_binary_opIfEEE10hipError_tPvRmT1_T2_T3_mT4_P12ihipStream_tbEUlT_E1_NS1_11comp_targetILNS1_3genE5ELNS1_11target_archE942ELNS1_3gpuE9ELNS1_3repE0EEENS1_30default_config_static_selectorELNS0_4arch9wavefront6targetE1EEEvSF_,"axG",@progbits,_ZN7rocprim17ROCPRIM_400000_NS6detail17trampoline_kernelINS0_14default_configENS1_22reduce_config_selectorI18summary_stats_dataIfEEEZNS1_11reduce_implILb1ES3_PS6_S9_S6_23summary_stats_binary_opIfEEE10hipError_tPvRmT1_T2_T3_mT4_P12ihipStream_tbEUlT_E1_NS1_11comp_targetILNS1_3genE5ELNS1_11target_archE942ELNS1_3gpuE9ELNS1_3repE0EEENS1_30default_config_static_selectorELNS0_4arch9wavefront6targetE1EEEvSF_,comdat
.Lfunc_end10:
	.size	_ZN7rocprim17ROCPRIM_400000_NS6detail17trampoline_kernelINS0_14default_configENS1_22reduce_config_selectorI18summary_stats_dataIfEEEZNS1_11reduce_implILb1ES3_PS6_S9_S6_23summary_stats_binary_opIfEEE10hipError_tPvRmT1_T2_T3_mT4_P12ihipStream_tbEUlT_E1_NS1_11comp_targetILNS1_3genE5ELNS1_11target_archE942ELNS1_3gpuE9ELNS1_3repE0EEENS1_30default_config_static_selectorELNS0_4arch9wavefront6targetE1EEEvSF_, .Lfunc_end10-_ZN7rocprim17ROCPRIM_400000_NS6detail17trampoline_kernelINS0_14default_configENS1_22reduce_config_selectorI18summary_stats_dataIfEEEZNS1_11reduce_implILb1ES3_PS6_S9_S6_23summary_stats_binary_opIfEEE10hipError_tPvRmT1_T2_T3_mT4_P12ihipStream_tbEUlT_E1_NS1_11comp_targetILNS1_3genE5ELNS1_11target_archE942ELNS1_3gpuE9ELNS1_3repE0EEENS1_30default_config_static_selectorELNS0_4arch9wavefront6targetE1EEEvSF_
                                        ; -- End function
	.set _ZN7rocprim17ROCPRIM_400000_NS6detail17trampoline_kernelINS0_14default_configENS1_22reduce_config_selectorI18summary_stats_dataIfEEEZNS1_11reduce_implILb1ES3_PS6_S9_S6_23summary_stats_binary_opIfEEE10hipError_tPvRmT1_T2_T3_mT4_P12ihipStream_tbEUlT_E1_NS1_11comp_targetILNS1_3genE5ELNS1_11target_archE942ELNS1_3gpuE9ELNS1_3repE0EEENS1_30default_config_static_selectorELNS0_4arch9wavefront6targetE1EEEvSF_.num_vgpr, 0
	.set _ZN7rocprim17ROCPRIM_400000_NS6detail17trampoline_kernelINS0_14default_configENS1_22reduce_config_selectorI18summary_stats_dataIfEEEZNS1_11reduce_implILb1ES3_PS6_S9_S6_23summary_stats_binary_opIfEEE10hipError_tPvRmT1_T2_T3_mT4_P12ihipStream_tbEUlT_E1_NS1_11comp_targetILNS1_3genE5ELNS1_11target_archE942ELNS1_3gpuE9ELNS1_3repE0EEENS1_30default_config_static_selectorELNS0_4arch9wavefront6targetE1EEEvSF_.num_agpr, 0
	.set _ZN7rocprim17ROCPRIM_400000_NS6detail17trampoline_kernelINS0_14default_configENS1_22reduce_config_selectorI18summary_stats_dataIfEEEZNS1_11reduce_implILb1ES3_PS6_S9_S6_23summary_stats_binary_opIfEEE10hipError_tPvRmT1_T2_T3_mT4_P12ihipStream_tbEUlT_E1_NS1_11comp_targetILNS1_3genE5ELNS1_11target_archE942ELNS1_3gpuE9ELNS1_3repE0EEENS1_30default_config_static_selectorELNS0_4arch9wavefront6targetE1EEEvSF_.numbered_sgpr, 0
	.set _ZN7rocprim17ROCPRIM_400000_NS6detail17trampoline_kernelINS0_14default_configENS1_22reduce_config_selectorI18summary_stats_dataIfEEEZNS1_11reduce_implILb1ES3_PS6_S9_S6_23summary_stats_binary_opIfEEE10hipError_tPvRmT1_T2_T3_mT4_P12ihipStream_tbEUlT_E1_NS1_11comp_targetILNS1_3genE5ELNS1_11target_archE942ELNS1_3gpuE9ELNS1_3repE0EEENS1_30default_config_static_selectorELNS0_4arch9wavefront6targetE1EEEvSF_.num_named_barrier, 0
	.set _ZN7rocprim17ROCPRIM_400000_NS6detail17trampoline_kernelINS0_14default_configENS1_22reduce_config_selectorI18summary_stats_dataIfEEEZNS1_11reduce_implILb1ES3_PS6_S9_S6_23summary_stats_binary_opIfEEE10hipError_tPvRmT1_T2_T3_mT4_P12ihipStream_tbEUlT_E1_NS1_11comp_targetILNS1_3genE5ELNS1_11target_archE942ELNS1_3gpuE9ELNS1_3repE0EEENS1_30default_config_static_selectorELNS0_4arch9wavefront6targetE1EEEvSF_.private_seg_size, 0
	.set _ZN7rocprim17ROCPRIM_400000_NS6detail17trampoline_kernelINS0_14default_configENS1_22reduce_config_selectorI18summary_stats_dataIfEEEZNS1_11reduce_implILb1ES3_PS6_S9_S6_23summary_stats_binary_opIfEEE10hipError_tPvRmT1_T2_T3_mT4_P12ihipStream_tbEUlT_E1_NS1_11comp_targetILNS1_3genE5ELNS1_11target_archE942ELNS1_3gpuE9ELNS1_3repE0EEENS1_30default_config_static_selectorELNS0_4arch9wavefront6targetE1EEEvSF_.uses_vcc, 0
	.set _ZN7rocprim17ROCPRIM_400000_NS6detail17trampoline_kernelINS0_14default_configENS1_22reduce_config_selectorI18summary_stats_dataIfEEEZNS1_11reduce_implILb1ES3_PS6_S9_S6_23summary_stats_binary_opIfEEE10hipError_tPvRmT1_T2_T3_mT4_P12ihipStream_tbEUlT_E1_NS1_11comp_targetILNS1_3genE5ELNS1_11target_archE942ELNS1_3gpuE9ELNS1_3repE0EEENS1_30default_config_static_selectorELNS0_4arch9wavefront6targetE1EEEvSF_.uses_flat_scratch, 0
	.set _ZN7rocprim17ROCPRIM_400000_NS6detail17trampoline_kernelINS0_14default_configENS1_22reduce_config_selectorI18summary_stats_dataIfEEEZNS1_11reduce_implILb1ES3_PS6_S9_S6_23summary_stats_binary_opIfEEE10hipError_tPvRmT1_T2_T3_mT4_P12ihipStream_tbEUlT_E1_NS1_11comp_targetILNS1_3genE5ELNS1_11target_archE942ELNS1_3gpuE9ELNS1_3repE0EEENS1_30default_config_static_selectorELNS0_4arch9wavefront6targetE1EEEvSF_.has_dyn_sized_stack, 0
	.set _ZN7rocprim17ROCPRIM_400000_NS6detail17trampoline_kernelINS0_14default_configENS1_22reduce_config_selectorI18summary_stats_dataIfEEEZNS1_11reduce_implILb1ES3_PS6_S9_S6_23summary_stats_binary_opIfEEE10hipError_tPvRmT1_T2_T3_mT4_P12ihipStream_tbEUlT_E1_NS1_11comp_targetILNS1_3genE5ELNS1_11target_archE942ELNS1_3gpuE9ELNS1_3repE0EEENS1_30default_config_static_selectorELNS0_4arch9wavefront6targetE1EEEvSF_.has_recursion, 0
	.set _ZN7rocprim17ROCPRIM_400000_NS6detail17trampoline_kernelINS0_14default_configENS1_22reduce_config_selectorI18summary_stats_dataIfEEEZNS1_11reduce_implILb1ES3_PS6_S9_S6_23summary_stats_binary_opIfEEE10hipError_tPvRmT1_T2_T3_mT4_P12ihipStream_tbEUlT_E1_NS1_11comp_targetILNS1_3genE5ELNS1_11target_archE942ELNS1_3gpuE9ELNS1_3repE0EEENS1_30default_config_static_selectorELNS0_4arch9wavefront6targetE1EEEvSF_.has_indirect_call, 0
	.section	.AMDGPU.csdata,"",@progbits
; Kernel info:
; codeLenInByte = 0
; TotalNumSgprs: 4
; NumVgprs: 0
; ScratchSize: 0
; MemoryBound: 0
; FloatMode: 240
; IeeeMode: 1
; LDSByteSize: 0 bytes/workgroup (compile time only)
; SGPRBlocks: 0
; VGPRBlocks: 0
; NumSGPRsForWavesPerEU: 4
; NumVGPRsForWavesPerEU: 1
; Occupancy: 10
; WaveLimiterHint : 0
; COMPUTE_PGM_RSRC2:SCRATCH_EN: 0
; COMPUTE_PGM_RSRC2:USER_SGPR: 6
; COMPUTE_PGM_RSRC2:TRAP_HANDLER: 0
; COMPUTE_PGM_RSRC2:TGID_X_EN: 1
; COMPUTE_PGM_RSRC2:TGID_Y_EN: 0
; COMPUTE_PGM_RSRC2:TGID_Z_EN: 0
; COMPUTE_PGM_RSRC2:TIDIG_COMP_CNT: 0
	.section	.text._ZN7rocprim17ROCPRIM_400000_NS6detail17trampoline_kernelINS0_14default_configENS1_22reduce_config_selectorI18summary_stats_dataIfEEEZNS1_11reduce_implILb1ES3_PS6_S9_S6_23summary_stats_binary_opIfEEE10hipError_tPvRmT1_T2_T3_mT4_P12ihipStream_tbEUlT_E1_NS1_11comp_targetILNS1_3genE4ELNS1_11target_archE910ELNS1_3gpuE8ELNS1_3repE0EEENS1_30default_config_static_selectorELNS0_4arch9wavefront6targetE1EEEvSF_,"axG",@progbits,_ZN7rocprim17ROCPRIM_400000_NS6detail17trampoline_kernelINS0_14default_configENS1_22reduce_config_selectorI18summary_stats_dataIfEEEZNS1_11reduce_implILb1ES3_PS6_S9_S6_23summary_stats_binary_opIfEEE10hipError_tPvRmT1_T2_T3_mT4_P12ihipStream_tbEUlT_E1_NS1_11comp_targetILNS1_3genE4ELNS1_11target_archE910ELNS1_3gpuE8ELNS1_3repE0EEENS1_30default_config_static_selectorELNS0_4arch9wavefront6targetE1EEEvSF_,comdat
	.protected	_ZN7rocprim17ROCPRIM_400000_NS6detail17trampoline_kernelINS0_14default_configENS1_22reduce_config_selectorI18summary_stats_dataIfEEEZNS1_11reduce_implILb1ES3_PS6_S9_S6_23summary_stats_binary_opIfEEE10hipError_tPvRmT1_T2_T3_mT4_P12ihipStream_tbEUlT_E1_NS1_11comp_targetILNS1_3genE4ELNS1_11target_archE910ELNS1_3gpuE8ELNS1_3repE0EEENS1_30default_config_static_selectorELNS0_4arch9wavefront6targetE1EEEvSF_ ; -- Begin function _ZN7rocprim17ROCPRIM_400000_NS6detail17trampoline_kernelINS0_14default_configENS1_22reduce_config_selectorI18summary_stats_dataIfEEEZNS1_11reduce_implILb1ES3_PS6_S9_S6_23summary_stats_binary_opIfEEE10hipError_tPvRmT1_T2_T3_mT4_P12ihipStream_tbEUlT_E1_NS1_11comp_targetILNS1_3genE4ELNS1_11target_archE910ELNS1_3gpuE8ELNS1_3repE0EEENS1_30default_config_static_selectorELNS0_4arch9wavefront6targetE1EEEvSF_
	.globl	_ZN7rocprim17ROCPRIM_400000_NS6detail17trampoline_kernelINS0_14default_configENS1_22reduce_config_selectorI18summary_stats_dataIfEEEZNS1_11reduce_implILb1ES3_PS6_S9_S6_23summary_stats_binary_opIfEEE10hipError_tPvRmT1_T2_T3_mT4_P12ihipStream_tbEUlT_E1_NS1_11comp_targetILNS1_3genE4ELNS1_11target_archE910ELNS1_3gpuE8ELNS1_3repE0EEENS1_30default_config_static_selectorELNS0_4arch9wavefront6targetE1EEEvSF_
	.p2align	8
	.type	_ZN7rocprim17ROCPRIM_400000_NS6detail17trampoline_kernelINS0_14default_configENS1_22reduce_config_selectorI18summary_stats_dataIfEEEZNS1_11reduce_implILb1ES3_PS6_S9_S6_23summary_stats_binary_opIfEEE10hipError_tPvRmT1_T2_T3_mT4_P12ihipStream_tbEUlT_E1_NS1_11comp_targetILNS1_3genE4ELNS1_11target_archE910ELNS1_3gpuE8ELNS1_3repE0EEENS1_30default_config_static_selectorELNS0_4arch9wavefront6targetE1EEEvSF_,@function
_ZN7rocprim17ROCPRIM_400000_NS6detail17trampoline_kernelINS0_14default_configENS1_22reduce_config_selectorI18summary_stats_dataIfEEEZNS1_11reduce_implILb1ES3_PS6_S9_S6_23summary_stats_binary_opIfEEE10hipError_tPvRmT1_T2_T3_mT4_P12ihipStream_tbEUlT_E1_NS1_11comp_targetILNS1_3genE4ELNS1_11target_archE910ELNS1_3gpuE8ELNS1_3repE0EEENS1_30default_config_static_selectorELNS0_4arch9wavefront6targetE1EEEvSF_: ; @_ZN7rocprim17ROCPRIM_400000_NS6detail17trampoline_kernelINS0_14default_configENS1_22reduce_config_selectorI18summary_stats_dataIfEEEZNS1_11reduce_implILb1ES3_PS6_S9_S6_23summary_stats_binary_opIfEEE10hipError_tPvRmT1_T2_T3_mT4_P12ihipStream_tbEUlT_E1_NS1_11comp_targetILNS1_3genE4ELNS1_11target_archE910ELNS1_3gpuE8ELNS1_3repE0EEENS1_30default_config_static_selectorELNS0_4arch9wavefront6targetE1EEEvSF_
; %bb.0:
	.section	.rodata,"a",@progbits
	.p2align	6, 0x0
	.amdhsa_kernel _ZN7rocprim17ROCPRIM_400000_NS6detail17trampoline_kernelINS0_14default_configENS1_22reduce_config_selectorI18summary_stats_dataIfEEEZNS1_11reduce_implILb1ES3_PS6_S9_S6_23summary_stats_binary_opIfEEE10hipError_tPvRmT1_T2_T3_mT4_P12ihipStream_tbEUlT_E1_NS1_11comp_targetILNS1_3genE4ELNS1_11target_archE910ELNS1_3gpuE8ELNS1_3repE0EEENS1_30default_config_static_selectorELNS0_4arch9wavefront6targetE1EEEvSF_
		.amdhsa_group_segment_fixed_size 0
		.amdhsa_private_segment_fixed_size 0
		.amdhsa_kernarg_size 64
		.amdhsa_user_sgpr_count 6
		.amdhsa_user_sgpr_private_segment_buffer 1
		.amdhsa_user_sgpr_dispatch_ptr 0
		.amdhsa_user_sgpr_queue_ptr 0
		.amdhsa_user_sgpr_kernarg_segment_ptr 1
		.amdhsa_user_sgpr_dispatch_id 0
		.amdhsa_user_sgpr_flat_scratch_init 0
		.amdhsa_user_sgpr_private_segment_size 0
		.amdhsa_uses_dynamic_stack 0
		.amdhsa_system_sgpr_private_segment_wavefront_offset 0
		.amdhsa_system_sgpr_workgroup_id_x 1
		.amdhsa_system_sgpr_workgroup_id_y 0
		.amdhsa_system_sgpr_workgroup_id_z 0
		.amdhsa_system_sgpr_workgroup_info 0
		.amdhsa_system_vgpr_workitem_id 0
		.amdhsa_next_free_vgpr 1
		.amdhsa_next_free_sgpr 0
		.amdhsa_reserve_vcc 0
		.amdhsa_reserve_flat_scratch 0
		.amdhsa_float_round_mode_32 0
		.amdhsa_float_round_mode_16_64 0
		.amdhsa_float_denorm_mode_32 3
		.amdhsa_float_denorm_mode_16_64 3
		.amdhsa_dx10_clamp 1
		.amdhsa_ieee_mode 1
		.amdhsa_fp16_overflow 0
		.amdhsa_exception_fp_ieee_invalid_op 0
		.amdhsa_exception_fp_denorm_src 0
		.amdhsa_exception_fp_ieee_div_zero 0
		.amdhsa_exception_fp_ieee_overflow 0
		.amdhsa_exception_fp_ieee_underflow 0
		.amdhsa_exception_fp_ieee_inexact 0
		.amdhsa_exception_int_div_zero 0
	.end_amdhsa_kernel
	.section	.text._ZN7rocprim17ROCPRIM_400000_NS6detail17trampoline_kernelINS0_14default_configENS1_22reduce_config_selectorI18summary_stats_dataIfEEEZNS1_11reduce_implILb1ES3_PS6_S9_S6_23summary_stats_binary_opIfEEE10hipError_tPvRmT1_T2_T3_mT4_P12ihipStream_tbEUlT_E1_NS1_11comp_targetILNS1_3genE4ELNS1_11target_archE910ELNS1_3gpuE8ELNS1_3repE0EEENS1_30default_config_static_selectorELNS0_4arch9wavefront6targetE1EEEvSF_,"axG",@progbits,_ZN7rocprim17ROCPRIM_400000_NS6detail17trampoline_kernelINS0_14default_configENS1_22reduce_config_selectorI18summary_stats_dataIfEEEZNS1_11reduce_implILb1ES3_PS6_S9_S6_23summary_stats_binary_opIfEEE10hipError_tPvRmT1_T2_T3_mT4_P12ihipStream_tbEUlT_E1_NS1_11comp_targetILNS1_3genE4ELNS1_11target_archE910ELNS1_3gpuE8ELNS1_3repE0EEENS1_30default_config_static_selectorELNS0_4arch9wavefront6targetE1EEEvSF_,comdat
.Lfunc_end11:
	.size	_ZN7rocprim17ROCPRIM_400000_NS6detail17trampoline_kernelINS0_14default_configENS1_22reduce_config_selectorI18summary_stats_dataIfEEEZNS1_11reduce_implILb1ES3_PS6_S9_S6_23summary_stats_binary_opIfEEE10hipError_tPvRmT1_T2_T3_mT4_P12ihipStream_tbEUlT_E1_NS1_11comp_targetILNS1_3genE4ELNS1_11target_archE910ELNS1_3gpuE8ELNS1_3repE0EEENS1_30default_config_static_selectorELNS0_4arch9wavefront6targetE1EEEvSF_, .Lfunc_end11-_ZN7rocprim17ROCPRIM_400000_NS6detail17trampoline_kernelINS0_14default_configENS1_22reduce_config_selectorI18summary_stats_dataIfEEEZNS1_11reduce_implILb1ES3_PS6_S9_S6_23summary_stats_binary_opIfEEE10hipError_tPvRmT1_T2_T3_mT4_P12ihipStream_tbEUlT_E1_NS1_11comp_targetILNS1_3genE4ELNS1_11target_archE910ELNS1_3gpuE8ELNS1_3repE0EEENS1_30default_config_static_selectorELNS0_4arch9wavefront6targetE1EEEvSF_
                                        ; -- End function
	.set _ZN7rocprim17ROCPRIM_400000_NS6detail17trampoline_kernelINS0_14default_configENS1_22reduce_config_selectorI18summary_stats_dataIfEEEZNS1_11reduce_implILb1ES3_PS6_S9_S6_23summary_stats_binary_opIfEEE10hipError_tPvRmT1_T2_T3_mT4_P12ihipStream_tbEUlT_E1_NS1_11comp_targetILNS1_3genE4ELNS1_11target_archE910ELNS1_3gpuE8ELNS1_3repE0EEENS1_30default_config_static_selectorELNS0_4arch9wavefront6targetE1EEEvSF_.num_vgpr, 0
	.set _ZN7rocprim17ROCPRIM_400000_NS6detail17trampoline_kernelINS0_14default_configENS1_22reduce_config_selectorI18summary_stats_dataIfEEEZNS1_11reduce_implILb1ES3_PS6_S9_S6_23summary_stats_binary_opIfEEE10hipError_tPvRmT1_T2_T3_mT4_P12ihipStream_tbEUlT_E1_NS1_11comp_targetILNS1_3genE4ELNS1_11target_archE910ELNS1_3gpuE8ELNS1_3repE0EEENS1_30default_config_static_selectorELNS0_4arch9wavefront6targetE1EEEvSF_.num_agpr, 0
	.set _ZN7rocprim17ROCPRIM_400000_NS6detail17trampoline_kernelINS0_14default_configENS1_22reduce_config_selectorI18summary_stats_dataIfEEEZNS1_11reduce_implILb1ES3_PS6_S9_S6_23summary_stats_binary_opIfEEE10hipError_tPvRmT1_T2_T3_mT4_P12ihipStream_tbEUlT_E1_NS1_11comp_targetILNS1_3genE4ELNS1_11target_archE910ELNS1_3gpuE8ELNS1_3repE0EEENS1_30default_config_static_selectorELNS0_4arch9wavefront6targetE1EEEvSF_.numbered_sgpr, 0
	.set _ZN7rocprim17ROCPRIM_400000_NS6detail17trampoline_kernelINS0_14default_configENS1_22reduce_config_selectorI18summary_stats_dataIfEEEZNS1_11reduce_implILb1ES3_PS6_S9_S6_23summary_stats_binary_opIfEEE10hipError_tPvRmT1_T2_T3_mT4_P12ihipStream_tbEUlT_E1_NS1_11comp_targetILNS1_3genE4ELNS1_11target_archE910ELNS1_3gpuE8ELNS1_3repE0EEENS1_30default_config_static_selectorELNS0_4arch9wavefront6targetE1EEEvSF_.num_named_barrier, 0
	.set _ZN7rocprim17ROCPRIM_400000_NS6detail17trampoline_kernelINS0_14default_configENS1_22reduce_config_selectorI18summary_stats_dataIfEEEZNS1_11reduce_implILb1ES3_PS6_S9_S6_23summary_stats_binary_opIfEEE10hipError_tPvRmT1_T2_T3_mT4_P12ihipStream_tbEUlT_E1_NS1_11comp_targetILNS1_3genE4ELNS1_11target_archE910ELNS1_3gpuE8ELNS1_3repE0EEENS1_30default_config_static_selectorELNS0_4arch9wavefront6targetE1EEEvSF_.private_seg_size, 0
	.set _ZN7rocprim17ROCPRIM_400000_NS6detail17trampoline_kernelINS0_14default_configENS1_22reduce_config_selectorI18summary_stats_dataIfEEEZNS1_11reduce_implILb1ES3_PS6_S9_S6_23summary_stats_binary_opIfEEE10hipError_tPvRmT1_T2_T3_mT4_P12ihipStream_tbEUlT_E1_NS1_11comp_targetILNS1_3genE4ELNS1_11target_archE910ELNS1_3gpuE8ELNS1_3repE0EEENS1_30default_config_static_selectorELNS0_4arch9wavefront6targetE1EEEvSF_.uses_vcc, 0
	.set _ZN7rocprim17ROCPRIM_400000_NS6detail17trampoline_kernelINS0_14default_configENS1_22reduce_config_selectorI18summary_stats_dataIfEEEZNS1_11reduce_implILb1ES3_PS6_S9_S6_23summary_stats_binary_opIfEEE10hipError_tPvRmT1_T2_T3_mT4_P12ihipStream_tbEUlT_E1_NS1_11comp_targetILNS1_3genE4ELNS1_11target_archE910ELNS1_3gpuE8ELNS1_3repE0EEENS1_30default_config_static_selectorELNS0_4arch9wavefront6targetE1EEEvSF_.uses_flat_scratch, 0
	.set _ZN7rocprim17ROCPRIM_400000_NS6detail17trampoline_kernelINS0_14default_configENS1_22reduce_config_selectorI18summary_stats_dataIfEEEZNS1_11reduce_implILb1ES3_PS6_S9_S6_23summary_stats_binary_opIfEEE10hipError_tPvRmT1_T2_T3_mT4_P12ihipStream_tbEUlT_E1_NS1_11comp_targetILNS1_3genE4ELNS1_11target_archE910ELNS1_3gpuE8ELNS1_3repE0EEENS1_30default_config_static_selectorELNS0_4arch9wavefront6targetE1EEEvSF_.has_dyn_sized_stack, 0
	.set _ZN7rocprim17ROCPRIM_400000_NS6detail17trampoline_kernelINS0_14default_configENS1_22reduce_config_selectorI18summary_stats_dataIfEEEZNS1_11reduce_implILb1ES3_PS6_S9_S6_23summary_stats_binary_opIfEEE10hipError_tPvRmT1_T2_T3_mT4_P12ihipStream_tbEUlT_E1_NS1_11comp_targetILNS1_3genE4ELNS1_11target_archE910ELNS1_3gpuE8ELNS1_3repE0EEENS1_30default_config_static_selectorELNS0_4arch9wavefront6targetE1EEEvSF_.has_recursion, 0
	.set _ZN7rocprim17ROCPRIM_400000_NS6detail17trampoline_kernelINS0_14default_configENS1_22reduce_config_selectorI18summary_stats_dataIfEEEZNS1_11reduce_implILb1ES3_PS6_S9_S6_23summary_stats_binary_opIfEEE10hipError_tPvRmT1_T2_T3_mT4_P12ihipStream_tbEUlT_E1_NS1_11comp_targetILNS1_3genE4ELNS1_11target_archE910ELNS1_3gpuE8ELNS1_3repE0EEENS1_30default_config_static_selectorELNS0_4arch9wavefront6targetE1EEEvSF_.has_indirect_call, 0
	.section	.AMDGPU.csdata,"",@progbits
; Kernel info:
; codeLenInByte = 0
; TotalNumSgprs: 4
; NumVgprs: 0
; ScratchSize: 0
; MemoryBound: 0
; FloatMode: 240
; IeeeMode: 1
; LDSByteSize: 0 bytes/workgroup (compile time only)
; SGPRBlocks: 0
; VGPRBlocks: 0
; NumSGPRsForWavesPerEU: 4
; NumVGPRsForWavesPerEU: 1
; Occupancy: 10
; WaveLimiterHint : 0
; COMPUTE_PGM_RSRC2:SCRATCH_EN: 0
; COMPUTE_PGM_RSRC2:USER_SGPR: 6
; COMPUTE_PGM_RSRC2:TRAP_HANDLER: 0
; COMPUTE_PGM_RSRC2:TGID_X_EN: 1
; COMPUTE_PGM_RSRC2:TGID_Y_EN: 0
; COMPUTE_PGM_RSRC2:TGID_Z_EN: 0
; COMPUTE_PGM_RSRC2:TIDIG_COMP_CNT: 0
	.section	.text._ZN7rocprim17ROCPRIM_400000_NS6detail17trampoline_kernelINS0_14default_configENS1_22reduce_config_selectorI18summary_stats_dataIfEEEZNS1_11reduce_implILb1ES3_PS6_S9_S6_23summary_stats_binary_opIfEEE10hipError_tPvRmT1_T2_T3_mT4_P12ihipStream_tbEUlT_E1_NS1_11comp_targetILNS1_3genE3ELNS1_11target_archE908ELNS1_3gpuE7ELNS1_3repE0EEENS1_30default_config_static_selectorELNS0_4arch9wavefront6targetE1EEEvSF_,"axG",@progbits,_ZN7rocprim17ROCPRIM_400000_NS6detail17trampoline_kernelINS0_14default_configENS1_22reduce_config_selectorI18summary_stats_dataIfEEEZNS1_11reduce_implILb1ES3_PS6_S9_S6_23summary_stats_binary_opIfEEE10hipError_tPvRmT1_T2_T3_mT4_P12ihipStream_tbEUlT_E1_NS1_11comp_targetILNS1_3genE3ELNS1_11target_archE908ELNS1_3gpuE7ELNS1_3repE0EEENS1_30default_config_static_selectorELNS0_4arch9wavefront6targetE1EEEvSF_,comdat
	.protected	_ZN7rocprim17ROCPRIM_400000_NS6detail17trampoline_kernelINS0_14default_configENS1_22reduce_config_selectorI18summary_stats_dataIfEEEZNS1_11reduce_implILb1ES3_PS6_S9_S6_23summary_stats_binary_opIfEEE10hipError_tPvRmT1_T2_T3_mT4_P12ihipStream_tbEUlT_E1_NS1_11comp_targetILNS1_3genE3ELNS1_11target_archE908ELNS1_3gpuE7ELNS1_3repE0EEENS1_30default_config_static_selectorELNS0_4arch9wavefront6targetE1EEEvSF_ ; -- Begin function _ZN7rocprim17ROCPRIM_400000_NS6detail17trampoline_kernelINS0_14default_configENS1_22reduce_config_selectorI18summary_stats_dataIfEEEZNS1_11reduce_implILb1ES3_PS6_S9_S6_23summary_stats_binary_opIfEEE10hipError_tPvRmT1_T2_T3_mT4_P12ihipStream_tbEUlT_E1_NS1_11comp_targetILNS1_3genE3ELNS1_11target_archE908ELNS1_3gpuE7ELNS1_3repE0EEENS1_30default_config_static_selectorELNS0_4arch9wavefront6targetE1EEEvSF_
	.globl	_ZN7rocprim17ROCPRIM_400000_NS6detail17trampoline_kernelINS0_14default_configENS1_22reduce_config_selectorI18summary_stats_dataIfEEEZNS1_11reduce_implILb1ES3_PS6_S9_S6_23summary_stats_binary_opIfEEE10hipError_tPvRmT1_T2_T3_mT4_P12ihipStream_tbEUlT_E1_NS1_11comp_targetILNS1_3genE3ELNS1_11target_archE908ELNS1_3gpuE7ELNS1_3repE0EEENS1_30default_config_static_selectorELNS0_4arch9wavefront6targetE1EEEvSF_
	.p2align	8
	.type	_ZN7rocprim17ROCPRIM_400000_NS6detail17trampoline_kernelINS0_14default_configENS1_22reduce_config_selectorI18summary_stats_dataIfEEEZNS1_11reduce_implILb1ES3_PS6_S9_S6_23summary_stats_binary_opIfEEE10hipError_tPvRmT1_T2_T3_mT4_P12ihipStream_tbEUlT_E1_NS1_11comp_targetILNS1_3genE3ELNS1_11target_archE908ELNS1_3gpuE7ELNS1_3repE0EEENS1_30default_config_static_selectorELNS0_4arch9wavefront6targetE1EEEvSF_,@function
_ZN7rocprim17ROCPRIM_400000_NS6detail17trampoline_kernelINS0_14default_configENS1_22reduce_config_selectorI18summary_stats_dataIfEEEZNS1_11reduce_implILb1ES3_PS6_S9_S6_23summary_stats_binary_opIfEEE10hipError_tPvRmT1_T2_T3_mT4_P12ihipStream_tbEUlT_E1_NS1_11comp_targetILNS1_3genE3ELNS1_11target_archE908ELNS1_3gpuE7ELNS1_3repE0EEENS1_30default_config_static_selectorELNS0_4arch9wavefront6targetE1EEEvSF_: ; @_ZN7rocprim17ROCPRIM_400000_NS6detail17trampoline_kernelINS0_14default_configENS1_22reduce_config_selectorI18summary_stats_dataIfEEEZNS1_11reduce_implILb1ES3_PS6_S9_S6_23summary_stats_binary_opIfEEE10hipError_tPvRmT1_T2_T3_mT4_P12ihipStream_tbEUlT_E1_NS1_11comp_targetILNS1_3genE3ELNS1_11target_archE908ELNS1_3gpuE7ELNS1_3repE0EEENS1_30default_config_static_selectorELNS0_4arch9wavefront6targetE1EEEvSF_
; %bb.0:
	.section	.rodata,"a",@progbits
	.p2align	6, 0x0
	.amdhsa_kernel _ZN7rocprim17ROCPRIM_400000_NS6detail17trampoline_kernelINS0_14default_configENS1_22reduce_config_selectorI18summary_stats_dataIfEEEZNS1_11reduce_implILb1ES3_PS6_S9_S6_23summary_stats_binary_opIfEEE10hipError_tPvRmT1_T2_T3_mT4_P12ihipStream_tbEUlT_E1_NS1_11comp_targetILNS1_3genE3ELNS1_11target_archE908ELNS1_3gpuE7ELNS1_3repE0EEENS1_30default_config_static_selectorELNS0_4arch9wavefront6targetE1EEEvSF_
		.amdhsa_group_segment_fixed_size 0
		.amdhsa_private_segment_fixed_size 0
		.amdhsa_kernarg_size 64
		.amdhsa_user_sgpr_count 6
		.amdhsa_user_sgpr_private_segment_buffer 1
		.amdhsa_user_sgpr_dispatch_ptr 0
		.amdhsa_user_sgpr_queue_ptr 0
		.amdhsa_user_sgpr_kernarg_segment_ptr 1
		.amdhsa_user_sgpr_dispatch_id 0
		.amdhsa_user_sgpr_flat_scratch_init 0
		.amdhsa_user_sgpr_private_segment_size 0
		.amdhsa_uses_dynamic_stack 0
		.amdhsa_system_sgpr_private_segment_wavefront_offset 0
		.amdhsa_system_sgpr_workgroup_id_x 1
		.amdhsa_system_sgpr_workgroup_id_y 0
		.amdhsa_system_sgpr_workgroup_id_z 0
		.amdhsa_system_sgpr_workgroup_info 0
		.amdhsa_system_vgpr_workitem_id 0
		.amdhsa_next_free_vgpr 1
		.amdhsa_next_free_sgpr 0
		.amdhsa_reserve_vcc 0
		.amdhsa_reserve_flat_scratch 0
		.amdhsa_float_round_mode_32 0
		.amdhsa_float_round_mode_16_64 0
		.amdhsa_float_denorm_mode_32 3
		.amdhsa_float_denorm_mode_16_64 3
		.amdhsa_dx10_clamp 1
		.amdhsa_ieee_mode 1
		.amdhsa_fp16_overflow 0
		.amdhsa_exception_fp_ieee_invalid_op 0
		.amdhsa_exception_fp_denorm_src 0
		.amdhsa_exception_fp_ieee_div_zero 0
		.amdhsa_exception_fp_ieee_overflow 0
		.amdhsa_exception_fp_ieee_underflow 0
		.amdhsa_exception_fp_ieee_inexact 0
		.amdhsa_exception_int_div_zero 0
	.end_amdhsa_kernel
	.section	.text._ZN7rocprim17ROCPRIM_400000_NS6detail17trampoline_kernelINS0_14default_configENS1_22reduce_config_selectorI18summary_stats_dataIfEEEZNS1_11reduce_implILb1ES3_PS6_S9_S6_23summary_stats_binary_opIfEEE10hipError_tPvRmT1_T2_T3_mT4_P12ihipStream_tbEUlT_E1_NS1_11comp_targetILNS1_3genE3ELNS1_11target_archE908ELNS1_3gpuE7ELNS1_3repE0EEENS1_30default_config_static_selectorELNS0_4arch9wavefront6targetE1EEEvSF_,"axG",@progbits,_ZN7rocprim17ROCPRIM_400000_NS6detail17trampoline_kernelINS0_14default_configENS1_22reduce_config_selectorI18summary_stats_dataIfEEEZNS1_11reduce_implILb1ES3_PS6_S9_S6_23summary_stats_binary_opIfEEE10hipError_tPvRmT1_T2_T3_mT4_P12ihipStream_tbEUlT_E1_NS1_11comp_targetILNS1_3genE3ELNS1_11target_archE908ELNS1_3gpuE7ELNS1_3repE0EEENS1_30default_config_static_selectorELNS0_4arch9wavefront6targetE1EEEvSF_,comdat
.Lfunc_end12:
	.size	_ZN7rocprim17ROCPRIM_400000_NS6detail17trampoline_kernelINS0_14default_configENS1_22reduce_config_selectorI18summary_stats_dataIfEEEZNS1_11reduce_implILb1ES3_PS6_S9_S6_23summary_stats_binary_opIfEEE10hipError_tPvRmT1_T2_T3_mT4_P12ihipStream_tbEUlT_E1_NS1_11comp_targetILNS1_3genE3ELNS1_11target_archE908ELNS1_3gpuE7ELNS1_3repE0EEENS1_30default_config_static_selectorELNS0_4arch9wavefront6targetE1EEEvSF_, .Lfunc_end12-_ZN7rocprim17ROCPRIM_400000_NS6detail17trampoline_kernelINS0_14default_configENS1_22reduce_config_selectorI18summary_stats_dataIfEEEZNS1_11reduce_implILb1ES3_PS6_S9_S6_23summary_stats_binary_opIfEEE10hipError_tPvRmT1_T2_T3_mT4_P12ihipStream_tbEUlT_E1_NS1_11comp_targetILNS1_3genE3ELNS1_11target_archE908ELNS1_3gpuE7ELNS1_3repE0EEENS1_30default_config_static_selectorELNS0_4arch9wavefront6targetE1EEEvSF_
                                        ; -- End function
	.set _ZN7rocprim17ROCPRIM_400000_NS6detail17trampoline_kernelINS0_14default_configENS1_22reduce_config_selectorI18summary_stats_dataIfEEEZNS1_11reduce_implILb1ES3_PS6_S9_S6_23summary_stats_binary_opIfEEE10hipError_tPvRmT1_T2_T3_mT4_P12ihipStream_tbEUlT_E1_NS1_11comp_targetILNS1_3genE3ELNS1_11target_archE908ELNS1_3gpuE7ELNS1_3repE0EEENS1_30default_config_static_selectorELNS0_4arch9wavefront6targetE1EEEvSF_.num_vgpr, 0
	.set _ZN7rocprim17ROCPRIM_400000_NS6detail17trampoline_kernelINS0_14default_configENS1_22reduce_config_selectorI18summary_stats_dataIfEEEZNS1_11reduce_implILb1ES3_PS6_S9_S6_23summary_stats_binary_opIfEEE10hipError_tPvRmT1_T2_T3_mT4_P12ihipStream_tbEUlT_E1_NS1_11comp_targetILNS1_3genE3ELNS1_11target_archE908ELNS1_3gpuE7ELNS1_3repE0EEENS1_30default_config_static_selectorELNS0_4arch9wavefront6targetE1EEEvSF_.num_agpr, 0
	.set _ZN7rocprim17ROCPRIM_400000_NS6detail17trampoline_kernelINS0_14default_configENS1_22reduce_config_selectorI18summary_stats_dataIfEEEZNS1_11reduce_implILb1ES3_PS6_S9_S6_23summary_stats_binary_opIfEEE10hipError_tPvRmT1_T2_T3_mT4_P12ihipStream_tbEUlT_E1_NS1_11comp_targetILNS1_3genE3ELNS1_11target_archE908ELNS1_3gpuE7ELNS1_3repE0EEENS1_30default_config_static_selectorELNS0_4arch9wavefront6targetE1EEEvSF_.numbered_sgpr, 0
	.set _ZN7rocprim17ROCPRIM_400000_NS6detail17trampoline_kernelINS0_14default_configENS1_22reduce_config_selectorI18summary_stats_dataIfEEEZNS1_11reduce_implILb1ES3_PS6_S9_S6_23summary_stats_binary_opIfEEE10hipError_tPvRmT1_T2_T3_mT4_P12ihipStream_tbEUlT_E1_NS1_11comp_targetILNS1_3genE3ELNS1_11target_archE908ELNS1_3gpuE7ELNS1_3repE0EEENS1_30default_config_static_selectorELNS0_4arch9wavefront6targetE1EEEvSF_.num_named_barrier, 0
	.set _ZN7rocprim17ROCPRIM_400000_NS6detail17trampoline_kernelINS0_14default_configENS1_22reduce_config_selectorI18summary_stats_dataIfEEEZNS1_11reduce_implILb1ES3_PS6_S9_S6_23summary_stats_binary_opIfEEE10hipError_tPvRmT1_T2_T3_mT4_P12ihipStream_tbEUlT_E1_NS1_11comp_targetILNS1_3genE3ELNS1_11target_archE908ELNS1_3gpuE7ELNS1_3repE0EEENS1_30default_config_static_selectorELNS0_4arch9wavefront6targetE1EEEvSF_.private_seg_size, 0
	.set _ZN7rocprim17ROCPRIM_400000_NS6detail17trampoline_kernelINS0_14default_configENS1_22reduce_config_selectorI18summary_stats_dataIfEEEZNS1_11reduce_implILb1ES3_PS6_S9_S6_23summary_stats_binary_opIfEEE10hipError_tPvRmT1_T2_T3_mT4_P12ihipStream_tbEUlT_E1_NS1_11comp_targetILNS1_3genE3ELNS1_11target_archE908ELNS1_3gpuE7ELNS1_3repE0EEENS1_30default_config_static_selectorELNS0_4arch9wavefront6targetE1EEEvSF_.uses_vcc, 0
	.set _ZN7rocprim17ROCPRIM_400000_NS6detail17trampoline_kernelINS0_14default_configENS1_22reduce_config_selectorI18summary_stats_dataIfEEEZNS1_11reduce_implILb1ES3_PS6_S9_S6_23summary_stats_binary_opIfEEE10hipError_tPvRmT1_T2_T3_mT4_P12ihipStream_tbEUlT_E1_NS1_11comp_targetILNS1_3genE3ELNS1_11target_archE908ELNS1_3gpuE7ELNS1_3repE0EEENS1_30default_config_static_selectorELNS0_4arch9wavefront6targetE1EEEvSF_.uses_flat_scratch, 0
	.set _ZN7rocprim17ROCPRIM_400000_NS6detail17trampoline_kernelINS0_14default_configENS1_22reduce_config_selectorI18summary_stats_dataIfEEEZNS1_11reduce_implILb1ES3_PS6_S9_S6_23summary_stats_binary_opIfEEE10hipError_tPvRmT1_T2_T3_mT4_P12ihipStream_tbEUlT_E1_NS1_11comp_targetILNS1_3genE3ELNS1_11target_archE908ELNS1_3gpuE7ELNS1_3repE0EEENS1_30default_config_static_selectorELNS0_4arch9wavefront6targetE1EEEvSF_.has_dyn_sized_stack, 0
	.set _ZN7rocprim17ROCPRIM_400000_NS6detail17trampoline_kernelINS0_14default_configENS1_22reduce_config_selectorI18summary_stats_dataIfEEEZNS1_11reduce_implILb1ES3_PS6_S9_S6_23summary_stats_binary_opIfEEE10hipError_tPvRmT1_T2_T3_mT4_P12ihipStream_tbEUlT_E1_NS1_11comp_targetILNS1_3genE3ELNS1_11target_archE908ELNS1_3gpuE7ELNS1_3repE0EEENS1_30default_config_static_selectorELNS0_4arch9wavefront6targetE1EEEvSF_.has_recursion, 0
	.set _ZN7rocprim17ROCPRIM_400000_NS6detail17trampoline_kernelINS0_14default_configENS1_22reduce_config_selectorI18summary_stats_dataIfEEEZNS1_11reduce_implILb1ES3_PS6_S9_S6_23summary_stats_binary_opIfEEE10hipError_tPvRmT1_T2_T3_mT4_P12ihipStream_tbEUlT_E1_NS1_11comp_targetILNS1_3genE3ELNS1_11target_archE908ELNS1_3gpuE7ELNS1_3repE0EEENS1_30default_config_static_selectorELNS0_4arch9wavefront6targetE1EEEvSF_.has_indirect_call, 0
	.section	.AMDGPU.csdata,"",@progbits
; Kernel info:
; codeLenInByte = 0
; TotalNumSgprs: 4
; NumVgprs: 0
; ScratchSize: 0
; MemoryBound: 0
; FloatMode: 240
; IeeeMode: 1
; LDSByteSize: 0 bytes/workgroup (compile time only)
; SGPRBlocks: 0
; VGPRBlocks: 0
; NumSGPRsForWavesPerEU: 4
; NumVGPRsForWavesPerEU: 1
; Occupancy: 10
; WaveLimiterHint : 0
; COMPUTE_PGM_RSRC2:SCRATCH_EN: 0
; COMPUTE_PGM_RSRC2:USER_SGPR: 6
; COMPUTE_PGM_RSRC2:TRAP_HANDLER: 0
; COMPUTE_PGM_RSRC2:TGID_X_EN: 1
; COMPUTE_PGM_RSRC2:TGID_Y_EN: 0
; COMPUTE_PGM_RSRC2:TGID_Z_EN: 0
; COMPUTE_PGM_RSRC2:TIDIG_COMP_CNT: 0
	.section	.text._ZN7rocprim17ROCPRIM_400000_NS6detail17trampoline_kernelINS0_14default_configENS1_22reduce_config_selectorI18summary_stats_dataIfEEEZNS1_11reduce_implILb1ES3_PS6_S9_S6_23summary_stats_binary_opIfEEE10hipError_tPvRmT1_T2_T3_mT4_P12ihipStream_tbEUlT_E1_NS1_11comp_targetILNS1_3genE2ELNS1_11target_archE906ELNS1_3gpuE6ELNS1_3repE0EEENS1_30default_config_static_selectorELNS0_4arch9wavefront6targetE1EEEvSF_,"axG",@progbits,_ZN7rocprim17ROCPRIM_400000_NS6detail17trampoline_kernelINS0_14default_configENS1_22reduce_config_selectorI18summary_stats_dataIfEEEZNS1_11reduce_implILb1ES3_PS6_S9_S6_23summary_stats_binary_opIfEEE10hipError_tPvRmT1_T2_T3_mT4_P12ihipStream_tbEUlT_E1_NS1_11comp_targetILNS1_3genE2ELNS1_11target_archE906ELNS1_3gpuE6ELNS1_3repE0EEENS1_30default_config_static_selectorELNS0_4arch9wavefront6targetE1EEEvSF_,comdat
	.protected	_ZN7rocprim17ROCPRIM_400000_NS6detail17trampoline_kernelINS0_14default_configENS1_22reduce_config_selectorI18summary_stats_dataIfEEEZNS1_11reduce_implILb1ES3_PS6_S9_S6_23summary_stats_binary_opIfEEE10hipError_tPvRmT1_T2_T3_mT4_P12ihipStream_tbEUlT_E1_NS1_11comp_targetILNS1_3genE2ELNS1_11target_archE906ELNS1_3gpuE6ELNS1_3repE0EEENS1_30default_config_static_selectorELNS0_4arch9wavefront6targetE1EEEvSF_ ; -- Begin function _ZN7rocprim17ROCPRIM_400000_NS6detail17trampoline_kernelINS0_14default_configENS1_22reduce_config_selectorI18summary_stats_dataIfEEEZNS1_11reduce_implILb1ES3_PS6_S9_S6_23summary_stats_binary_opIfEEE10hipError_tPvRmT1_T2_T3_mT4_P12ihipStream_tbEUlT_E1_NS1_11comp_targetILNS1_3genE2ELNS1_11target_archE906ELNS1_3gpuE6ELNS1_3repE0EEENS1_30default_config_static_selectorELNS0_4arch9wavefront6targetE1EEEvSF_
	.globl	_ZN7rocprim17ROCPRIM_400000_NS6detail17trampoline_kernelINS0_14default_configENS1_22reduce_config_selectorI18summary_stats_dataIfEEEZNS1_11reduce_implILb1ES3_PS6_S9_S6_23summary_stats_binary_opIfEEE10hipError_tPvRmT1_T2_T3_mT4_P12ihipStream_tbEUlT_E1_NS1_11comp_targetILNS1_3genE2ELNS1_11target_archE906ELNS1_3gpuE6ELNS1_3repE0EEENS1_30default_config_static_selectorELNS0_4arch9wavefront6targetE1EEEvSF_
	.p2align	8
	.type	_ZN7rocprim17ROCPRIM_400000_NS6detail17trampoline_kernelINS0_14default_configENS1_22reduce_config_selectorI18summary_stats_dataIfEEEZNS1_11reduce_implILb1ES3_PS6_S9_S6_23summary_stats_binary_opIfEEE10hipError_tPvRmT1_T2_T3_mT4_P12ihipStream_tbEUlT_E1_NS1_11comp_targetILNS1_3genE2ELNS1_11target_archE906ELNS1_3gpuE6ELNS1_3repE0EEENS1_30default_config_static_selectorELNS0_4arch9wavefront6targetE1EEEvSF_,@function
_ZN7rocprim17ROCPRIM_400000_NS6detail17trampoline_kernelINS0_14default_configENS1_22reduce_config_selectorI18summary_stats_dataIfEEEZNS1_11reduce_implILb1ES3_PS6_S9_S6_23summary_stats_binary_opIfEEE10hipError_tPvRmT1_T2_T3_mT4_P12ihipStream_tbEUlT_E1_NS1_11comp_targetILNS1_3genE2ELNS1_11target_archE906ELNS1_3gpuE6ELNS1_3repE0EEENS1_30default_config_static_selectorELNS0_4arch9wavefront6targetE1EEEvSF_: ; @_ZN7rocprim17ROCPRIM_400000_NS6detail17trampoline_kernelINS0_14default_configENS1_22reduce_config_selectorI18summary_stats_dataIfEEEZNS1_11reduce_implILb1ES3_PS6_S9_S6_23summary_stats_binary_opIfEEE10hipError_tPvRmT1_T2_T3_mT4_P12ihipStream_tbEUlT_E1_NS1_11comp_targetILNS1_3genE2ELNS1_11target_archE906ELNS1_3gpuE6ELNS1_3repE0EEENS1_30default_config_static_selectorELNS0_4arch9wavefront6targetE1EEEvSF_
; %bb.0:
	s_load_dword s33, s[4:5], 0x4
	s_load_dwordx4 s[24:27], s[4:5], 0x8
	s_load_dwordx8 s[16:23], s[4:5], 0x20
	s_waitcnt lgkmcnt(0)
	s_cmp_lt_i32 s33, 2
	s_cbranch_scc1 .LBB13_9
; %bb.1:
	s_cmp_gt_i32 s33, 3
	s_cbranch_scc0 .LBB13_10
; %bb.2:
	s_cmp_eq_u32 s33, 4
	s_mov_b64 s[12:13], 0
	s_cbranch_scc0 .LBB13_11
; %bb.3:
	s_lshl_b32 s14, s6, 10
	s_lshr_b64 s[0:1], s[26:27], 10
	s_mul_i32 s2, s6, 0x7000
	s_mul_hi_u32 s3, s14, 28
	s_add_u32 s10, s24, s2
	s_mov_b32 s7, 0
	s_addc_u32 s11, s25, s3
	s_cmp_lg_u64 s[0:1], s[6:7]
	s_cbranch_scc0 .LBB13_20
; %bb.4:
	v_mad_u64_u32 v[9:10], s[0:1], v0, 28, s[10:11]
	v_add_co_u32_e32 v11, vcc, 0x1c00, v9
	s_mov_b64 s[0:1], vcc
	v_add_co_u32_e32 v12, vcc, 0x1000, v9
	v_addc_co_u32_e32 v13, vcc, 0, v10, vcc
	global_load_dwordx4 v[1:4], v[9:10], off
	global_load_dwordx4 v[5:8], v[12:13], off offset:3072
	global_load_dwordx3 v[16:18], v[9:10], off offset:16
	v_addc_co_u32_e64 v12, vcc, 0, v10, s[0:1]
	global_load_dwordx3 v[19:21], v[11:12], off offset:16
	v_add_co_u32_e32 v12, vcc, 0x3800, v9
	v_addc_co_u32_e32 v13, vcc, 0, v10, vcc
	v_add_co_u32_e32 v14, vcc, 0x3000, v9
	v_addc_co_u32_e32 v15, vcc, 0, v10, vcc
	;; [unrolled: 2-line block ×4, first 2 shown]
	s_waitcnt vmcnt(3)
	v_mul_f32_e32 v29, v1, v1
	s_waitcnt vmcnt(2)
	v_sub_f32_e32 v31, v8, v4
	s_waitcnt vmcnt(1)
	v_mul_f32_e32 v9, v16, v5
	v_add_f32_e32 v30, v1, v5
	v_mul_f32_e32 v33, v31, v31
	v_mul_f32_e32 v34, v5, v31
	;; [unrolled: 1-line block ×3, first 2 shown]
	s_waitcnt vmcnt(0)
	v_fma_f32 v9, v1, v19, -v9
	v_div_scale_f32 v23, s[0:1], v30, v30, v34
	v_mul_f32_e32 v24, v1, v33
	v_mul_f32_e32 v35, v11, v9
	;; [unrolled: 1-line block ×3, first 2 shown]
	v_div_scale_f32 v9, s[0:1], v30, v30, v35
	v_div_scale_f32 v11, s[0:1], v30, v30, v36
	v_div_scale_f32 v24, vcc, v34, v30, v34
	v_mul_f32_e32 v22, v31, v33
	v_mul_f32_e32 v37, v31, v22
	;; [unrolled: 1-line block ×3, first 2 shown]
	v_sub_f32_e32 v8, v1, v5
	v_mul_f32_e32 v22, v5, v22
	v_mul_f32_e32 v32, v30, v30
	;; [unrolled: 1-line block ×3, first 2 shown]
	v_div_scale_f32 v22, s[2:3], v32, v32, v39
	v_fma_f32 v10, -v1, v5, v29
	v_mul_f32_e32 v37, v1, v37
	v_fmac_f32_e32 v10, v5, v5
	v_mul_f32_e32 v8, v5, v37
	v_rcp_f32_e32 v37, v23
	v_div_scale_f32 v38, s[0:1], v36, v30, v36
	v_mul_f32_e32 v40, v10, v8
	v_rcp_f32_e32 v8, v9
	v_rcp_f32_e32 v10, v11
	v_fma_f32 v41, -v23, v37, 1.0
	v_fmac_f32_e32 v37, v41, v37
	v_fma_f32 v41, -v9, v8, 1.0
	v_mul_f32_e32 v42, v24, v37
	v_fmac_f32_e32 v8, v41, v8
	v_fma_f32 v41, -v11, v10, 1.0
	v_fmac_f32_e32 v10, v41, v10
	v_fma_f32 v41, -v23, v42, v24
	v_fmac_f32_e32 v42, v41, v37
	v_div_scale_f32 v41, s[2:3], v39, v32, v39
	v_fma_f32 v23, -v23, v42, v24
	v_rcp_f32_e32 v24, v22
	v_div_fmas_f32 v37, v23, v37, v42
	v_mul_f32_e32 v23, v38, v10
	s_mov_b64 vcc, s[0:1]
	v_fma_f32 v42, -v22, v24, 1.0
	v_fmac_f32_e32 v24, v42, v24
	v_fma_f32 v42, -v11, v23, v38
	v_fmac_f32_e32 v23, v42, v10
	v_mul_f32_e32 v42, v30, v32
	v_fma_f32 v11, -v11, v23, v38
	v_div_fmas_f32 v43, v11, v10, v23
	v_div_scale_f32 v23, s[0:1], v42, v42, v40
	v_div_scale_f32 v38, s[8:9], v35, v30, v35
	v_mul_f32_e32 v10, v41, v24
	v_fma_f32 v11, -v22, v10, v41
	v_fmac_f32_e32 v10, v11, v24
	v_fma_f32 v11, -v22, v10, v41
	v_div_scale_f32 v22, s[0:1], v40, v42, v40
	s_mov_b64 vcc, s[2:3]
	v_div_fmas_f32 v41, v11, v24, v10
	s_mov_b64 vcc, s[8:9]
	v_div_fixup_f32 v34, v37, v30, v34
	v_mul_f32_e32 v37, v5, v5
	v_add_f32_e32 v4, v4, v34
	v_rcp_f32_e32 v44, v23
	v_add_f32_e32 v18, v18, v21
	v_mul_f32_e32 v10, v38, v8
	v_fma_f32 v11, -v9, v10, v38
	v_fmac_f32_e32 v10, v11, v8
	v_fma_f32 v11, -v23, v44, 1.0
	v_fmac_f32_e32 v44, v11, v44
	v_fma_f32 v9, -v9, v10, v38
	v_mul_f32_e32 v38, v22, v44
	v_div_fmas_f32 v45, v9, v8, v10
	v_fma_f32 v8, -v23, v38, v22
	v_fmac_f32_e32 v38, v8, v44
	global_load_dwordx4 v[8:11], v[14:15], off offset:2048
	v_fma_f32 v14, -v23, v38, v22
	s_mov_b64 vcc, s[0:1]
	global_load_dwordx3 v[22:24], v[12:13], off offset:16
	v_div_fmas_f32 v38, v14, v44, v38
	v_cmp_lt_f32_e32 vcc, v6, v2
	v_cndmask_b32_e32 v2, v2, v6, vcc
	v_cmp_lt_f32_e32 vcc, v3, v7
	v_cndmask_b32_e32 v3, v3, v7, vcc
	v_mul_f32_e32 v44, v17, v5
	global_load_dwordx4 v[12:15], v[27:28], off offset:1024
	global_load_dwordx3 v[5:7], v[25:26], off offset:16
	v_mul_f32_e32 v26, v29, v19
	v_mul_f32_e32 v25, 0x40c00000, v33
	v_fmac_f32_e32 v26, v16, v37
	v_mul_f32_e32 v25, v25, v26
	v_div_scale_f32 v26, s[0:1], v32, v32, v25
	v_add_f32_e32 v16, v16, v19
	v_div_fixup_f32 v19, v43, v30, v36
	v_add_f32_e32 v16, v16, v19
	v_div_scale_f32 v19, vcc, v25, v32, v25
	v_mul_f32_e32 v27, 4.0, v31
	v_fma_f32 v1, v1, v20, -v44
	v_mul_f32_e32 v1, v27, v1
	v_add_f32_e32 v17, v17, v20
	v_div_scale_f32 v20, s[0:1], v30, v30, v1
	v_div_fixup_f32 v27, v41, v32, v39
	v_add_f32_e32 v17, v17, v27
	v_div_fixup_f32 v27, v45, v30, v35
	v_rcp_f32_e32 v28, v26
	v_add_f32_e32 v17, v27, v17
	v_div_scale_f32 v29, s[0:1], v1, v30, v1
	v_fma_f32 v27, -v26, v28, 1.0
	v_fmac_f32_e32 v28, v27, v28
	v_mul_f32_e32 v27, v19, v28
	v_fma_f32 v31, -v26, v27, v19
	v_fmac_f32_e32 v27, v31, v28
	v_fma_f32 v19, -v26, v27, v19
	v_div_fmas_f32 v19, v19, v28, v27
	v_rcp_f32_e32 v26, v20
	v_div_fixup_f32 v21, v38, v42, v40
	s_mov_b64 vcc, s[0:1]
	v_add_f32_e32 v18, v18, v21
	v_fma_f32 v27, -v20, v26, 1.0
	v_fmac_f32_e32 v26, v27, v26
	v_mul_f32_e32 v27, v29, v26
	v_fma_f32 v38, -v20, v27, v29
	v_fmac_f32_e32 v27, v38, v26
	v_fma_f32 v20, -v20, v27, v29
	v_div_fmas_f32 v20, v20, v26, v27
	v_div_fixup_f32 v19, v19, v32, v25
	v_add_f32_e32 v18, v19, v18
	v_div_fixup_f32 v1, v20, v30, v1
	v_add_f32_e32 v1, v1, v18
	s_waitcnt vmcnt(3)
	v_sub_f32_e32 v11, v11, v4
	v_add_f32_e32 v31, v30, v8
	v_mul_f32_e32 v33, v8, v11
	v_div_scale_f32 v34, s[2:3], v31, v31, v33
	v_mul_f32_e32 v28, v11, v11
	v_div_scale_f32 v35, s[2:3], v33, v31, v33
	v_mul_f32_e32 v36, v30, v28
	v_mul_f32_e32 v36, v8, v36
	v_div_scale_f32 v37, s[8:9], v31, v31, v36
	v_div_scale_f32 v38, s[8:9], v36, v31, v36
	s_mov_b64 vcc, s[2:3]
	v_mul_f32_e32 v27, v11, v28
	v_mul_f32_e32 v26, v31, v31
	;; [unrolled: 1-line block ×4, first 2 shown]
	v_rcp_f32_e32 v29, v34
	v_mul_f32_e32 v19, v30, v19
	v_mul_f32_e32 v19, v8, v19
	;; [unrolled: 1-line block ×3, first 2 shown]
	v_fma_f32 v39, -v34, v29, 1.0
	v_fmac_f32_e32 v29, v39, v29
	v_mul_f32_e32 v39, v35, v29
	v_fma_f32 v40, -v34, v39, v35
	v_fmac_f32_e32 v39, v40, v29
	v_rcp_f32_e32 v40, v37
	v_fma_f32 v34, -v34, v39, v35
	v_div_fmas_f32 v29, v34, v29, v39
	s_mov_b64 vcc, s[8:9]
	v_fma_f32 v34, -v37, v40, 1.0
	v_fmac_f32_e32 v40, v34, v40
	v_mul_f32_e32 v34, v38, v40
	v_fma_f32 v35, -v37, v34, v38
	v_fmac_f32_e32 v34, v35, v40
	v_fma_f32 v35, -v37, v34, v38
	v_div_fmas_f32 v34, v35, v40, v34
	v_mul_f32_e32 v35, v30, v27
	v_mul_f32_e32 v35, v8, v35
	v_sub_f32_e32 v37, v30, v8
	v_mul_f32_e32 v35, v37, v35
	v_div_scale_f32 v37, s[0:1], v26, v26, v35
	v_cmp_lt_f32_e32 vcc, v9, v2
	v_cndmask_b32_e32 v2, v2, v9, vcc
	v_cmp_lt_f32_e32 vcc, v3, v10
	v_mul_f32_e32 v27, v8, v16
	v_cndmask_b32_e32 v3, v3, v10, vcc
	v_div_scale_f32 v21, vcc, v35, v26, v35
	s_waitcnt vmcnt(2)
	v_fma_f32 v27, v30, v22, -v27
	v_mul_f32_e32 v25, v25, v27
	v_div_scale_f32 v27, s[0:1], v31, v31, v25
	v_div_fixup_f32 v9, v29, v31, v33
	v_add_f32_e32 v4, v4, v9
	v_add_f32_e32 v9, v16, v22
	v_rcp_f32_e32 v20, v37
	v_div_fixup_f32 v10, v34, v31, v36
	v_add_f32_e32 v9, v9, v10
	v_fma_f32 v29, -v30, v8, v32
	v_fma_f32 v10, -v37, v20, 1.0
	v_fmac_f32_e32 v20, v10, v20
	v_div_scale_f32 v10, s[0:1], v25, v31, v25
	v_fmac_f32_e32 v29, v8, v8
	v_mul_f32_e32 v19, v29, v19
	v_div_scale_f32 v29, s[2:3], v18, v18, v19
	v_mul_f32_e32 v33, v21, v20
	v_fma_f32 v34, -v37, v33, v21
	v_div_scale_f32 v36, s[2:3], v19, v18, v19
	v_fmac_f32_e32 v33, v34, v20
	v_rcp_f32_e32 v34, v27
	v_fma_f32 v21, -v37, v33, v21
	v_div_fmas_f32 v20, v21, v20, v33
	s_mov_b64 vcc, s[0:1]
	v_fma_f32 v21, -v27, v34, 1.0
	v_fmac_f32_e32 v34, v21, v34
	v_mul_f32_e32 v21, v10, v34
	v_fma_f32 v33, -v27, v21, v10
	v_fmac_f32_e32 v21, v33, v34
	v_fma_f32 v10, -v27, v21, v10
	v_rcp_f32_e32 v27, v29
	v_div_fmas_f32 v10, v10, v34, v21
	v_mul_f32_e32 v21, v8, v8
	v_mul_f32_e32 v22, v32, v22
	v_fma_f32 v33, -v29, v27, 1.0
	v_fmac_f32_e32 v27, v33, v27
	v_mul_f32_e32 v33, v36, v27
	v_fma_f32 v34, -v29, v33, v36
	v_mul_f32_e32 v28, 0x40c00000, v28
	v_fmac_f32_e32 v22, v21, v16
	v_fmac_f32_e32 v33, v34, v27
	v_mul_f32_e32 v16, v28, v22
	v_div_scale_f32 v21, s[0:1], v26, v26, v16
	v_fma_f32 v22, -v29, v33, v36
	s_mov_b64 vcc, s[2:3]
	v_div_fmas_f32 v22, v22, v27, v33
	v_div_scale_f32 v28, vcc, v16, v26, v16
	v_mul_f32_e32 v8, v8, v17
	v_mul_f32_e32 v11, 4.0, v11
	v_fma_f32 v8, v30, v23, -v8
	v_mul_f32_e32 v8, v11, v8
	v_div_scale_f32 v11, s[0:1], v31, v31, v8
	v_add_f32_e32 v27, v17, v23
	v_div_fixup_f32 v17, v20, v26, v35
	v_add_f32_e32 v17, v27, v17
	v_div_fixup_f32 v10, v10, v31, v25
	v_rcp_f32_e32 v20, v21
	v_add_f32_e32 v10, v10, v17
	s_waitcnt vmcnt(1)
	v_sub_f32_e32 v15, v15, v4
	v_div_fixup_f32 v17, v22, v18, v19
	v_div_scale_f32 v19, s[0:1], v8, v31, v8
	v_add_f32_e32 v1, v24, v1
	v_fma_f32 v18, -v21, v20, 1.0
	v_add_f32_e32 v23, v31, v12
	v_mul_f32_e32 v24, v12, v15
	v_fmac_f32_e32 v20, v18, v20
	v_div_scale_f32 v25, s[2:3], v23, v23, v24
	v_mul_f32_e32 v18, v28, v20
	v_fma_f32 v22, -v21, v18, v28
	v_fmac_f32_e32 v18, v22, v20
	v_fma_f32 v21, -v21, v18, v28
	v_div_fmas_f32 v18, v21, v20, v18
	v_mul_f32_e32 v21, v15, v15
	v_rcp_f32_e32 v22, v11
	v_div_scale_f32 v27, s[2:3], v24, v23, v24
	v_mul_f32_e32 v28, v31, v21
	v_mul_f32_e32 v28, v12, v28
	v_div_scale_f32 v29, s[8:9], v23, v23, v28
	v_fma_f32 v20, -v11, v22, 1.0
	v_fmac_f32_e32 v22, v20, v22
	v_mul_f32_e32 v20, v19, v22
	v_fma_f32 v30, -v11, v20, v19
	v_fmac_f32_e32 v20, v30, v22
	v_div_scale_f32 v30, s[8:9], v28, v23, v28
	v_fma_f32 v11, -v11, v20, v19
	v_rcp_f32_e32 v19, v25
	s_mov_b64 vcc, s[0:1]
	v_div_fmas_f32 v11, v11, v22, v20
	s_mov_b64 vcc, s[2:3]
	v_fma_f32 v32, -v25, v19, 1.0
	v_fmac_f32_e32 v19, v32, v19
	v_mul_f32_e32 v32, v27, v19
	v_fma_f32 v33, -v25, v32, v27
	v_fmac_f32_e32 v32, v33, v19
	v_rcp_f32_e32 v33, v29
	v_fma_f32 v25, -v25, v32, v27
	v_div_fmas_f32 v19, v25, v19, v32
	v_mul_f32_e32 v22, v15, v21
	v_fma_f32 v25, -v29, v33, 1.0
	v_fmac_f32_e32 v33, v25, v33
	v_mul_f32_e32 v25, v30, v33
	v_fma_f32 v27, -v29, v25, v30
	v_fmac_f32_e32 v25, v27, v33
	v_fma_f32 v27, -v29, v25, v30
	s_mov_b64 vcc, s[8:9]
	v_div_fmas_f32 v25, v27, v33, v25
	v_mul_f32_e32 v27, v31, v22
	v_mul_f32_e32 v27, v12, v27
	v_sub_f32_e32 v29, v31, v12
	v_mul_f32_e32 v20, v23, v23
	v_mul_f32_e32 v27, v29, v27
	v_div_scale_f32 v29, s[0:1], v20, v20, v27
	v_cmp_lt_f32_e32 vcc, v13, v2
	v_cndmask_b32_e32 v2, v2, v13, vcc
	v_cmp_lt_f32_e32 vcc, v3, v14
	v_div_fixup_f32 v13, v19, v23, v24
	v_mul_f32_e32 v19, v12, v9
	v_add_f32_e32 v1, v1, v17
	v_div_fixup_f32 v16, v18, v26, v16
	v_cndmask_b32_e32 v3, v3, v14, vcc
	v_div_scale_f32 v17, vcc, v27, v20, v27
	v_mul_f32_e32 v18, 0x40400000, v15
	s_waitcnt vmcnt(0)
	v_fma_f32 v19, v31, v5, -v19
	v_mul_f32_e32 v18, v18, v19
	v_div_scale_f32 v19, s[0:1], v23, v23, v18
	v_add_f32_e32 v1, v16, v1
	v_rcp_f32_e32 v16, v29
	v_add_f32_e32 v4, v4, v13
	v_add_f32_e32 v13, v9, v5
	v_div_fixup_f32 v14, v25, v23, v28
	v_div_fixup_f32 v8, v11, v31, v8
	v_mul_f32_e32 v11, v15, v22
	v_add_f32_e32 v13, v13, v14
	v_fma_f32 v14, -v29, v16, 1.0
	v_fmac_f32_e32 v16, v14, v16
	v_div_scale_f32 v14, s[0:1], v18, v23, v18
	v_mul_f32_e32 v11, v31, v11
	v_fma_f32 v22, -v31, v12, v26
	v_mul_f32_e32 v11, v12, v11
	v_fmac_f32_e32 v22, v12, v12
	v_add_f32_e32 v1, v8, v1
	v_mul_f32_e32 v8, v23, v20
	v_mul_f32_e32 v11, v22, v11
	v_div_scale_f32 v22, s[2:3], v8, v8, v11
	v_mul_f32_e32 v24, v17, v16
	v_fma_f32 v25, -v29, v24, v17
	v_div_scale_f32 v28, s[2:3], v11, v8, v11
	v_fmac_f32_e32 v24, v25, v16
	v_rcp_f32_e32 v25, v19
	v_fma_f32 v17, -v29, v24, v17
	v_div_fmas_f32 v16, v17, v16, v24
	s_mov_b64 vcc, s[0:1]
	v_fma_f32 v17, -v19, v25, 1.0
	v_fmac_f32_e32 v25, v17, v25
	v_mul_f32_e32 v17, v14, v25
	v_fma_f32 v24, -v19, v17, v14
	v_fmac_f32_e32 v17, v24, v25
	v_fma_f32 v14, -v19, v17, v14
	v_rcp_f32_e32 v19, v22
	v_div_fmas_f32 v14, v14, v25, v17
	v_mul_f32_e32 v17, v12, v12
	v_mul_f32_e32 v5, v26, v5
	v_fma_f32 v24, -v22, v19, 1.0
	v_mul_f32_e32 v21, 0x40c00000, v21
	v_fmac_f32_e32 v5, v17, v9
	v_fmac_f32_e32 v19, v24, v19
	v_mul_f32_e32 v5, v21, v5
	v_mul_f32_e32 v24, v28, v19
	v_div_scale_f32 v9, s[0:1], v20, v20, v5
	v_fma_f32 v25, -v22, v24, v28
	v_fmac_f32_e32 v24, v25, v19
	v_fma_f32 v22, -v22, v24, v28
	s_mov_b64 vcc, s[2:3]
	v_div_fmas_f32 v17, v22, v19, v24
	v_mul_f32_e32 v12, v12, v10
	v_div_scale_f32 v19, vcc, v5, v20, v5
	v_mul_f32_e32 v15, 4.0, v15
	v_fma_f32 v12, v31, v6, -v12
	v_mul_f32_e32 v12, v15, v12
	v_div_scale_f32 v15, s[0:1], v23, v23, v12
	v_add_f32_e32 v6, v10, v6
	v_div_fixup_f32 v10, v16, v20, v27
	v_add_f32_e32 v6, v6, v10
	v_div_fixup_f32 v10, v14, v23, v18
	v_div_scale_f32 v14, s[0:1], v12, v23, v12
	v_rcp_f32_e32 v16, v9
	v_add_f32_e32 v1, v7, v1
	v_div_fixup_f32 v7, v17, v8, v11
	v_add_f32_e32 v6, v10, v6
	v_fma_f32 v8, -v9, v16, 1.0
	v_fmac_f32_e32 v16, v8, v16
	v_mul_f32_e32 v8, v19, v16
	v_fma_f32 v10, -v9, v8, v19
	v_fmac_f32_e32 v8, v10, v16
	v_rcp_f32_e32 v10, v15
	v_fma_f32 v9, -v9, v8, v19
	v_div_fmas_f32 v8, v9, v16, v8
	s_mov_b64 vcc, s[0:1]
	v_fma_f32 v9, -v15, v10, 1.0
	v_fmac_f32_e32 v10, v9, v10
	v_mul_f32_e32 v9, v14, v10
	v_fma_f32 v11, -v15, v9, v14
	v_fmac_f32_e32 v9, v11, v10
	v_fma_f32 v11, -v15, v9, v14
	v_div_fmas_f32 v9, v11, v10, v9
	v_mov_b32_dpp v10, v23 quad_perm:[1,0,3,2] row_mask:0xf bank_mask:0xf bound_ctrl:1
	v_mov_b32_dpp v11, v4 quad_perm:[1,0,3,2] row_mask:0xf bank_mask:0xf bound_ctrl:1
	v_sub_f32_e32 v4, v4, v11
	v_add_f32_e32 v14, v23, v10
	v_mul_f32_e32 v15, v23, v4
	v_div_scale_f32 v16, s[0:1], v14, v14, v15
	v_add_f32_e32 v1, v1, v7
	v_mul_f32_e32 v7, v4, v4
	v_div_fixup_f32 v5, v8, v20, v5
	v_div_scale_f32 v8, vcc, v15, v14, v15
	v_mul_f32_e32 v17, v7, v10
	v_mul_f32_e32 v17, v23, v17
	v_div_scale_f32 v18, s[0:1], v14, v14, v17
	v_add_f32_e32 v1, v5, v1
	v_div_fixup_f32 v5, v9, v23, v12
	v_div_scale_f32 v9, s[0:1], v17, v14, v17
	v_mul_f32_e32 v21, v4, v7
	v_rcp_f32_e32 v12, v16
	v_mul_f32_e32 v19, v14, v14
	v_mul_f32_e32 v29, v10, v10
	v_fma_f32 v30, -v23, v10, v29
	v_fma_f32 v22, -v16, v12, 1.0
	v_fmac_f32_e32 v12, v22, v12
	v_mul_f32_e32 v22, v8, v12
	v_fma_f32 v24, -v16, v22, v8
	v_fmac_f32_e32 v22, v24, v12
	v_rcp_f32_e32 v24, v18
	v_fma_f32 v8, -v16, v22, v8
	v_div_fmas_f32 v8, v8, v12, v22
	s_mov_b64 vcc, s[0:1]
	v_fma_f32 v12, -v18, v24, 1.0
	v_fmac_f32_e32 v24, v12, v24
	v_mul_f32_e32 v12, v9, v24
	v_fma_f32 v16, -v18, v12, v9
	v_fmac_f32_e32 v12, v16, v24
	v_fma_f32 v9, -v18, v12, v9
	v_div_fmas_f32 v9, v9, v24, v12
	v_mul_f32_e32 v16, v21, v10
	v_mul_f32_e32 v16, v23, v16
	v_sub_f32_e32 v18, v10, v23
	v_mul_f32_e32 v16, v18, v16
	v_div_scale_f32 v18, s[2:3], v19, v19, v16
	v_mov_b32_dpp v12, v2 quad_perm:[1,0,3,2] row_mask:0xf bank_mask:0xf bound_ctrl:1
	v_mov_b32_dpp v22, v3 quad_perm:[1,0,3,2] row_mask:0xf bank_mask:0xf bound_ctrl:1
	v_cmp_lt_f32_e32 vcc, v2, v12
	v_cndmask_b32_e32 v2, v12, v2, vcc
	v_cmp_gt_f32_e32 vcc, v3, v22
	v_mov_b32_dpp v24, v13 quad_perm:[1,0,3,2] row_mask:0xf bank_mask:0xf bound_ctrl:1
	v_cndmask_b32_e32 v3, v22, v3, vcc
	v_div_fixup_f32 v8, v8, v14, v15
	v_div_scale_f32 v15, vcc, v16, v19, v16
	v_mul_f32_e32 v22, v23, v24
	v_div_fixup_f32 v9, v9, v14, v17
	v_mul_f32_e32 v17, 0x40400000, v4
	v_fma_f32 v22, v13, v10, -v22
	v_mul_f32_e32 v17, v17, v22
	v_div_scale_f32 v22, s[0:1], v14, v14, v17
	v_mul_f32_e32 v21, v4, v21
	v_mul_f32_e32 v21, v21, v10
	v_add_f32_e32 v8, v8, v11
	v_rcp_f32_e32 v11, v18
	v_div_scale_f32 v28, s[0:1], v17, v14, v17
	v_mul_f32_e32 v21, v23, v21
	v_fmac_f32_e32 v30, v23, v23
	v_mul_f32_e32 v27, v14, v19
	v_mul_f32_e32 v21, v30, v21
	v_div_scale_f32 v30, s[2:3], v27, v27, v21
	v_add_f32_e32 v12, v13, v24
	v_add_f32_e32 v9, v12, v9
	v_fma_f32 v12, -v18, v11, 1.0
	v_fmac_f32_e32 v11, v12, v11
	v_mul_f32_e32 v12, v15, v11
	v_fma_f32 v31, -v18, v12, v15
	v_fmac_f32_e32 v12, v31, v11
	v_div_scale_f32 v31, s[2:3], v21, v27, v21
	v_rcp_f32_e32 v32, v22
	v_fma_f32 v15, -v18, v12, v15
	v_div_fmas_f32 v11, v15, v11, v12
	s_mov_b64 vcc, s[0:1]
	v_fma_f32 v12, -v22, v32, 1.0
	v_fmac_f32_e32 v32, v12, v32
	v_mul_f32_e32 v12, v28, v32
	v_fma_f32 v15, -v22, v12, v28
	v_fmac_f32_e32 v12, v15, v32
	v_rcp_f32_e32 v15, v30
	v_fma_f32 v18, -v22, v12, v28
	v_mul_f32_e32 v20, v20, v24
	v_div_fmas_f32 v12, v18, v32, v12
	v_fma_f32 v18, -v30, v15, 1.0
	v_mul_f32_e32 v7, 0x40c00000, v7
	v_fmac_f32_e32 v20, v13, v29
	v_fmac_f32_e32 v15, v18, v15
	v_mul_f32_e32 v7, v7, v20
	v_mul_f32_e32 v18, v31, v15
	v_div_scale_f32 v13, s[0:1], v19, v19, v7
	v_fma_f32 v22, -v30, v18, v31
	v_fmac_f32_e32 v18, v22, v15
	v_fma_f32 v22, -v30, v18, v31
	s_mov_b64 vcc, s[2:3]
	v_mov_b32_dpp v25, v6 quad_perm:[1,0,3,2] row_mask:0xf bank_mask:0xf bound_ctrl:1
	v_div_fmas_f32 v15, v22, v15, v18
	v_mul_f32_e32 v20, v23, v25
	v_div_scale_f32 v18, vcc, v7, v19, v7
	v_mul_f32_e32 v4, 4.0, v4
	v_fma_f32 v10, v6, v10, -v20
	v_mul_f32_e32 v4, v4, v10
	v_div_scale_f32 v10, s[0:1], v14, v14, v4
	v_add_f32_e32 v6, v6, v25
	v_div_fixup_f32 v11, v11, v19, v16
	v_add_f32_e32 v6, v6, v11
	v_div_fixup_f32 v11, v12, v14, v17
	v_div_scale_f32 v12, s[0:1], v4, v14, v4
	v_rcp_f32_e32 v16, v13
	v_add_f32_e32 v6, v11, v6
	v_div_fixup_f32 v11, v15, v27, v21
	v_add_f32_e32 v1, v5, v1
	v_fma_f32 v15, -v13, v16, 1.0
	v_fmac_f32_e32 v16, v15, v16
	v_mul_f32_e32 v15, v18, v16
	v_fma_f32 v17, -v13, v15, v18
	v_fmac_f32_e32 v15, v17, v16
	v_rcp_f32_e32 v17, v10
	v_fma_f32 v13, -v13, v15, v18
	v_div_fmas_f32 v13, v13, v16, v15
	s_mov_b64 vcc, s[0:1]
	v_fma_f32 v15, -v10, v17, 1.0
	v_fmac_f32_e32 v17, v15, v17
	v_mul_f32_e32 v15, v12, v17
	v_fma_f32 v16, -v10, v15, v12
	v_fmac_f32_e32 v15, v16, v17
	v_fma_f32 v10, -v10, v15, v12
	v_div_fmas_f32 v10, v10, v17, v15
	v_mov_b32_dpp v15, v8 quad_perm:[2,3,0,1] row_mask:0xf bank_mask:0xf bound_ctrl:1
	v_mov_b32_dpp v12, v14 quad_perm:[2,3,0,1] row_mask:0xf bank_mask:0xf bound_ctrl:1
	v_sub_f32_e32 v8, v8, v15
	v_add_f32_e32 v16, v14, v12
	v_mul_f32_e32 v17, v14, v8
	v_div_scale_f32 v18, s[0:1], v16, v16, v17
	v_mov_b32_dpp v26, v1 quad_perm:[1,0,3,2] row_mask:0xf bank_mask:0xf bound_ctrl:1
	v_add_f32_e32 v1, v1, v26
	v_add_f32_e32 v1, v1, v11
	v_mul_f32_e32 v11, v8, v8
	v_div_fixup_f32 v7, v13, v19, v7
	v_div_scale_f32 v13, vcc, v17, v16, v17
	v_mul_f32_e32 v20, v11, v12
	v_mul_f32_e32 v20, v14, v20
	v_div_scale_f32 v21, s[0:1], v16, v16, v20
	v_add_f32_e32 v1, v7, v1
	v_div_scale_f32 v7, s[0:1], v20, v16, v20
	v_div_fixup_f32 v4, v10, v14, v4
	v_rcp_f32_e32 v10, v18
	v_mul_f32_e32 v24, v8, v11
	v_mul_f32_e32 v23, v16, v16
	v_add_f32_e32 v1, v4, v1
	v_fma_f32 v25, -v18, v10, 1.0
	v_fmac_f32_e32 v10, v25, v10
	v_mul_f32_e32 v25, v13, v10
	v_fma_f32 v26, -v18, v25, v13
	v_fmac_f32_e32 v25, v26, v10
	v_fma_f32 v13, -v18, v25, v13
	v_rcp_f32_e32 v26, v21
	v_div_fmas_f32 v10, v13, v10, v25
	s_mov_b64 vcc, s[0:1]
	v_mov_b32_dpp v4, v2 quad_perm:[2,3,0,1] row_mask:0xf bank_mask:0xf bound_ctrl:1
	v_fma_f32 v13, -v21, v26, 1.0
	v_fmac_f32_e32 v26, v13, v26
	v_mul_f32_e32 v13, v7, v26
	v_fma_f32 v18, -v21, v13, v7
	v_fmac_f32_e32 v13, v18, v26
	v_fma_f32 v7, -v21, v13, v7
	v_div_fmas_f32 v7, v7, v26, v13
	v_mul_f32_e32 v13, v24, v12
	v_mul_f32_e32 v13, v14, v13
	v_sub_f32_e32 v18, v12, v14
	v_mul_f32_e32 v13, v18, v13
	v_div_scale_f32 v18, s[0:1], v23, v23, v13
	v_mov_b32_dpp v22, v3 quad_perm:[2,3,0,1] row_mask:0xf bank_mask:0xf bound_ctrl:1
	v_cmp_lt_f32_e32 vcc, v2, v4
	v_mov_b32_dpp v21, v9 quad_perm:[2,3,0,1] row_mask:0xf bank_mask:0xf bound_ctrl:1
	v_cndmask_b32_e32 v2, v4, v2, vcc
	v_cmp_gt_f32_e32 vcc, v3, v22
	v_cndmask_b32_e32 v3, v22, v3, vcc
	v_mul_f32_e32 v22, v14, v21
	v_div_fixup_f32 v4, v10, v16, v17
	v_div_scale_f32 v17, vcc, v13, v23, v13
	v_div_fixup_f32 v7, v7, v16, v20
	v_mul_f32_e32 v20, 0x40400000, v8
	v_fma_f32 v22, v9, v12, -v22
	v_mul_f32_e32 v20, v20, v22
	v_div_scale_f32 v22, s[0:1], v16, v16, v20
	v_div_scale_f32 v28, s[0:1], v20, v16, v20
	v_mul_f32_e32 v24, v8, v24
	v_add_f32_e32 v4, v4, v15
	v_rcp_f32_e32 v15, v18
	v_mul_f32_e32 v29, v12, v12
	v_mul_f32_e32 v24, v24, v12
	v_fma_f32 v30, -v14, v12, v29
	v_mul_f32_e32 v24, v14, v24
	v_fmac_f32_e32 v30, v14, v14
	v_mul_f32_e32 v27, v16, v23
	v_mul_f32_e32 v24, v30, v24
	v_div_scale_f32 v30, s[2:3], v27, v27, v24
	v_fma_f32 v31, -v18, v15, 1.0
	v_fmac_f32_e32 v15, v31, v15
	v_mul_f32_e32 v31, v17, v15
	v_fma_f32 v32, -v18, v31, v17
	v_fmac_f32_e32 v31, v32, v15
	v_rcp_f32_e32 v32, v22
	v_fma_f32 v17, -v18, v31, v17
	v_div_fmas_f32 v15, v17, v15, v31
	v_mul_f32_e32 v19, v19, v21
	v_fma_f32 v17, -v22, v32, 1.0
	v_fmac_f32_e32 v32, v17, v32
	v_mul_f32_e32 v17, v28, v32
	v_fma_f32 v18, -v22, v17, v28
	v_fmac_f32_e32 v17, v18, v32
	v_fma_f32 v18, -v22, v17, v28
	v_div_scale_f32 v28, s[2:3], v24, v27, v24
	v_mul_f32_e32 v11, 0x40c00000, v11
	v_fmac_f32_e32 v19, v29, v9
	v_add_f32_e32 v10, v9, v21
	v_mul_f32_e32 v9, v11, v19
	v_div_scale_f32 v11, s[8:9], v23, v23, v9
	v_rcp_f32_e32 v22, v30
	s_mov_b64 vcc, s[0:1]
	v_mov_b32_dpp v25, v6 quad_perm:[2,3,0,1] row_mask:0xf bank_mask:0xf bound_ctrl:1
	v_div_fmas_f32 v17, v18, v32, v17
	v_fma_f32 v18, -v30, v22, 1.0
	v_fmac_f32_e32 v22, v18, v22
	v_div_scale_f32 v18, s[0:1], v9, v23, v9
	v_mul_f32_e32 v14, v14, v25
	v_add_f32_e32 v7, v10, v7
	v_add_f32_e32 v10, v6, v25
	v_mul_f32_e32 v8, 4.0, v8
	v_fma_f32 v6, v6, v12, -v14
	v_mul_f32_e32 v6, v8, v6
	v_div_scale_f32 v8, s[8:9], v16, v16, v6
	v_mul_f32_e32 v12, v28, v22
	v_fma_f32 v14, -v30, v12, v28
	v_div_scale_f32 v19, s[8:9], v6, v16, v6
	v_fmac_f32_e32 v12, v14, v22
	v_rcp_f32_e32 v14, v11
	v_fma_f32 v21, -v30, v12, v28
	s_mov_b64 vcc, s[2:3]
	v_div_fmas_f32 v12, v21, v22, v12
	v_fma_f32 v21, -v11, v14, 1.0
	v_fmac_f32_e32 v14, v21, v14
	v_mul_f32_e32 v21, v18, v14
	v_fma_f32 v22, -v11, v21, v18
	v_fmac_f32_e32 v21, v22, v14
	v_fma_f32 v11, -v11, v21, v18
	v_rcp_f32_e32 v18, v8
	s_mov_b64 vcc, s[0:1]
	v_div_fmas_f32 v11, v11, v14, v21
	v_div_fixup_f32 v13, v15, v23, v13
	v_fma_f32 v14, -v8, v18, 1.0
	v_fmac_f32_e32 v18, v14, v18
	v_mul_f32_e32 v14, v19, v18
	v_fma_f32 v15, -v8, v14, v19
	v_fmac_f32_e32 v14, v15, v18
	v_fma_f32 v8, -v8, v14, v19
	s_mov_b64 vcc, s[8:9]
	v_div_fmas_f32 v8, v8, v18, v14
	v_mov_b32_dpp v26, v1 quad_perm:[2,3,0,1] row_mask:0xf bank_mask:0xf bound_ctrl:1
	v_add_f32_e32 v1, v1, v26
	v_div_fixup_f32 v12, v12, v27, v24
	v_add_f32_e32 v1, v1, v12
	v_add_f32_e32 v10, v10, v13
	v_mov_b32_dpp v12, v4 row_ror:4 row_mask:0xf bank_mask:0xf bound_ctrl:1
	v_div_fixup_f32 v13, v17, v16, v20
	v_div_fixup_f32 v9, v11, v23, v9
	v_mov_b32_dpp v11, v16 row_ror:4 row_mask:0xf bank_mask:0xf bound_ctrl:1
	v_sub_f32_e32 v4, v4, v12
	v_add_f32_e32 v10, v13, v10
	v_add_f32_e32 v13, v16, v11
	v_mul_f32_e32 v14, v16, v4
	v_div_scale_f32 v15, s[0:1], v13, v13, v14
	v_div_fixup_f32 v6, v8, v16, v6
	v_div_scale_f32 v8, vcc, v14, v13, v14
	v_mul_f32_e32 v17, v4, v4
	v_mul_f32_e32 v18, v17, v11
	;; [unrolled: 1-line block ×3, first 2 shown]
	v_div_scale_f32 v19, s[0:1], v13, v13, v18
	v_mul_f32_e32 v26, v4, v17
	v_mul_f32_e32 v27, v4, v26
	;; [unrolled: 1-line block ×5, first 2 shown]
	v_mov_b32_dpp v20, v7 row_ror:4 row_mask:0xf bank_mask:0xf bound_ctrl:1
	v_rcp_f32_e32 v24, v15
	v_mul_f32_e32 v32, v16, v20
	v_mul_f32_e32 v31, 0x40400000, v4
	v_fma_f32 v32, v7, v11, -v32
	v_fma_f32 v28, -v15, v24, 1.0
	v_fmac_f32_e32 v24, v28, v24
	v_mul_f32_e32 v28, v8, v24
	v_fma_f32 v29, -v15, v28, v8
	v_fmac_f32_e32 v28, v29, v24
	v_fma_f32 v8, -v15, v28, v8
	v_div_fmas_f32 v8, v8, v24, v28
	v_div_scale_f32 v24, vcc, v18, v13, v18
	v_sub_f32_e32 v28, v11, v16
	v_mul_f32_e32 v26, v28, v26
	v_div_scale_f32 v28, s[0:1], v22, v22, v26
	v_rcp_f32_e32 v15, v19
	v_div_scale_f32 v30, s[0:1], v26, v22, v26
	v_mul_f32_e32 v31, v31, v32
	v_div_scale_f32 v32, s[2:3], v13, v13, v31
	v_fma_f32 v29, -v19, v15, 1.0
	v_fmac_f32_e32 v15, v29, v15
	v_mul_f32_e32 v27, v27, v11
	v_mul_f32_e32 v27, v16, v27
	;; [unrolled: 1-line block ×3, first 2 shown]
	v_fma_f32 v33, -v19, v29, v24
	v_fmac_f32_e32 v29, v33, v15
	v_div_scale_f32 v33, s[2:3], v31, v13, v31
	v_rcp_f32_e32 v34, v28
	v_fma_f32 v19, -v19, v29, v24
	v_div_fmas_f32 v15, v19, v15, v29
	s_mov_b64 vcc, s[0:1]
	v_fma_f32 v19, -v28, v34, 1.0
	v_fmac_f32_e32 v34, v19, v34
	v_mul_f32_e32 v19, v30, v34
	v_fma_f32 v24, -v28, v19, v30
	v_fmac_f32_e32 v19, v24, v34
	v_rcp_f32_e32 v24, v32
	v_fma_f32 v28, -v28, v19, v30
	v_div_fmas_f32 v19, v28, v34, v19
	s_mov_b64 vcc, s[2:3]
	v_fma_f32 v28, -v32, v24, 1.0
	v_fmac_f32_e32 v24, v28, v24
	v_mul_f32_e32 v28, v33, v24
	v_fma_f32 v29, -v32, v28, v33
	v_fmac_f32_e32 v28, v29, v24
	v_fma_f32 v29, -v32, v28, v33
	v_div_fmas_f32 v24, v29, v24, v28
	v_mul_f32_e32 v28, v11, v11
	v_fma_f32 v29, -v16, v11, v28
	v_fmac_f32_e32 v29, v16, v16
	v_mul_f32_e32 v25, v13, v22
	v_mul_f32_e32 v27, v29, v27
	v_div_scale_f32 v29, s[0:1], v25, v25, v27
	v_add_f32_e32 v1, v9, v1
	v_add_f32_e32 v1, v6, v1
	v_mov_b32_dpp v6, v2 row_ror:4 row_mask:0xf bank_mask:0xf bound_ctrl:1
	v_mov_b32_dpp v9, v3 row_ror:4 row_mask:0xf bank_mask:0xf bound_ctrl:1
	v_cmp_lt_f32_e32 vcc, v2, v6
	v_cndmask_b32_e32 v2, v6, v2, vcc
	v_cmp_gt_f32_e32 vcc, v3, v9
	v_cndmask_b32_e32 v3, v9, v3, vcc
	v_div_fixup_f32 v6, v8, v13, v14
	v_div_scale_f32 v14, vcc, v27, v25, v27
	v_div_fixup_f32 v9, v15, v13, v18
	v_mul_f32_e32 v15, 0x40c00000, v17
	v_mul_f32_e32 v17, v23, v20
	v_fmac_f32_e32 v17, v28, v7
	v_add_f32_e32 v8, v7, v20
	v_mul_f32_e32 v7, v15, v17
	v_div_scale_f32 v15, s[0:1], v22, v22, v7
	v_mov_b32_dpp v21, v10 row_ror:4 row_mask:0xf bank_mask:0xf bound_ctrl:1
	v_add_f32_e32 v6, v6, v12
	v_add_f32_e32 v8, v8, v9
	;; [unrolled: 1-line block ×3, first 2 shown]
	v_div_fixup_f32 v12, v19, v22, v26
	v_add_f32_e32 v9, v9, v12
	v_div_fixup_f32 v12, v24, v13, v31
	v_mul_f32_e32 v16, v16, v21
	v_add_f32_e32 v9, v12, v9
	v_rcp_f32_e32 v12, v29
	v_div_scale_f32 v18, s[0:1], v7, v22, v7
	v_mul_f32_e32 v4, 4.0, v4
	v_fma_f32 v10, v10, v11, -v16
	v_mul_f32_e32 v4, v4, v10
	v_div_scale_f32 v10, s[2:3], v13, v13, v4
	v_fma_f32 v17, -v29, v12, 1.0
	v_fmac_f32_e32 v12, v17, v12
	v_mul_f32_e32 v11, v14, v12
	v_fma_f32 v16, -v29, v11, v14
	v_fmac_f32_e32 v11, v16, v12
	v_div_scale_f32 v16, s[2:3], v4, v13, v4
	v_rcp_f32_e32 v17, v15
	v_fma_f32 v14, -v29, v11, v14
	v_div_fmas_f32 v11, v14, v12, v11
	s_mov_b64 vcc, s[0:1]
	v_fma_f32 v12, -v15, v17, 1.0
	v_fmac_f32_e32 v17, v12, v17
	v_mul_f32_e32 v12, v18, v17
	v_fma_f32 v14, -v15, v12, v18
	v_fmac_f32_e32 v12, v14, v17
	v_rcp_f32_e32 v14, v10
	v_fma_f32 v15, -v15, v12, v18
	v_div_fmas_f32 v12, v15, v17, v12
	s_mov_b64 vcc, s[2:3]
	v_fma_f32 v15, -v10, v14, 1.0
	v_fmac_f32_e32 v14, v15, v14
	v_mul_f32_e32 v15, v16, v14
	v_fma_f32 v17, -v10, v15, v16
	v_fmac_f32_e32 v15, v17, v14
	v_fma_f32 v10, -v10, v15, v16
	v_div_fmas_f32 v10, v10, v14, v15
	v_mov_b32_dpp v15, v6 row_ror:8 row_mask:0xf bank_mask:0xf bound_ctrl:1
	v_mov_b32_dpp v14, v13 row_ror:8 row_mask:0xf bank_mask:0xf bound_ctrl:1
	v_sub_f32_e32 v6, v6, v15
	v_add_f32_e32 v16, v13, v14
	v_mul_f32_e32 v17, v13, v6
	v_div_scale_f32 v18, s[0:1], v16, v16, v17
	v_mul_f32_e32 v19, v6, v6
	v_div_scale_f32 v20, vcc, v17, v16, v17
	v_mul_f32_e32 v21, v19, v14
	v_mul_f32_e32 v21, v13, v21
	v_div_scale_f32 v23, s[0:1], v16, v16, v21
	v_mov_b32_dpp v30, v1 row_ror:4 row_mask:0xf bank_mask:0xf bound_ctrl:1
	v_add_f32_e32 v1, v1, v30
	v_div_fixup_f32 v11, v11, v25, v27
	v_add_f32_e32 v1, v1, v11
	v_div_fixup_f32 v7, v12, v22, v7
	v_add_f32_e32 v1, v7, v1
	v_div_scale_f32 v7, s[0:1], v21, v16, v21
	v_div_fixup_f32 v4, v10, v13, v4
	v_rcp_f32_e32 v10, v18
	v_mul_f32_e32 v11, v6, v19
	v_add_f32_e32 v1, v4, v1
	v_mul_f32_e32 v4, v16, v16
	v_fma_f32 v12, -v18, v10, 1.0
	v_fmac_f32_e32 v10, v12, v10
	v_mul_f32_e32 v12, v20, v10
	v_fma_f32 v24, -v18, v12, v20
	v_fmac_f32_e32 v12, v24, v10
	v_rcp_f32_e32 v24, v23
	v_fma_f32 v18, -v18, v12, v20
	v_div_fmas_f32 v10, v18, v10, v12
	s_mov_b64 vcc, s[0:1]
	v_fma_f32 v12, -v23, v24, 1.0
	v_fmac_f32_e32 v24, v12, v24
	v_mul_f32_e32 v12, v7, v24
	v_fma_f32 v18, -v23, v12, v7
	v_fmac_f32_e32 v12, v18, v24
	v_fma_f32 v7, -v23, v12, v7
	v_div_fmas_f32 v7, v7, v24, v12
	v_mul_f32_e32 v18, v11, v14
	v_mul_f32_e32 v18, v13, v18
	v_sub_f32_e32 v20, v14, v13
	v_mul_f32_e32 v18, v20, v18
	v_div_scale_f32 v20, s[2:3], v4, v4, v18
	v_mov_b32_dpp v12, v2 row_ror:8 row_mask:0xf bank_mask:0xf bound_ctrl:1
	v_mov_b32_dpp v23, v3 row_ror:8 row_mask:0xf bank_mask:0xf bound_ctrl:1
	v_cmp_lt_f32_e32 vcc, v2, v12
	v_cndmask_b32_e32 v2, v12, v2, vcc
	v_cmp_gt_f32_e32 vcc, v3, v23
	v_mov_b32_dpp v24, v8 row_ror:8 row_mask:0xf bank_mask:0xf bound_ctrl:1
	v_cndmask_b32_e32 v3, v23, v3, vcc
	v_div_fixup_f32 v10, v10, v16, v17
	v_div_scale_f32 v17, vcc, v18, v4, v18
	v_mul_f32_e32 v23, v13, v24
	v_div_fixup_f32 v7, v7, v16, v21
	v_mul_f32_e32 v21, 0x40400000, v6
	v_fma_f32 v23, v8, v14, -v23
	v_mul_f32_e32 v21, v21, v23
	v_div_scale_f32 v23, s[0:1], v16, v16, v21
	v_mul_f32_e32 v11, v6, v11
	v_mul_f32_e32 v29, v14, v14
	;; [unrolled: 1-line block ×3, first 2 shown]
	v_fma_f32 v30, -v13, v14, v29
	v_rcp_f32_e32 v12, v20
	v_div_scale_f32 v28, s[0:1], v21, v16, v21
	v_mul_f32_e32 v11, v13, v11
	v_fmac_f32_e32 v30, v13, v13
	v_mul_f32_e32 v27, v16, v4
	v_mul_f32_e32 v11, v30, v11
	v_div_scale_f32 v30, s[2:3], v27, v27, v11
	v_add_f32_e32 v10, v10, v15
	v_add_f32_e32 v15, v8, v24
	v_add_f32_e32 v7, v15, v7
	v_fma_f32 v15, -v20, v12, 1.0
	v_fmac_f32_e32 v12, v15, v12
	v_mul_f32_e32 v15, v17, v12
	v_fma_f32 v31, -v20, v15, v17
	v_fmac_f32_e32 v15, v31, v12
	v_div_scale_f32 v31, s[2:3], v11, v27, v11
	v_rcp_f32_e32 v32, v23
	v_fma_f32 v17, -v20, v15, v17
	v_div_fmas_f32 v12, v17, v12, v15
	v_mul_f32_e32 v22, v22, v24
	v_fma_f32 v15, -v23, v32, 1.0
	v_fmac_f32_e32 v32, v15, v32
	v_mul_f32_e32 v15, v28, v32
	v_fma_f32 v17, -v23, v15, v28
	v_fmac_f32_e32 v15, v17, v32
	v_rcp_f32_e32 v17, v30
	v_mul_f32_e32 v19, 0x40c00000, v19
	v_fmac_f32_e32 v22, v29, v8
	v_fma_f32 v20, -v23, v15, v28
	s_mov_b64 vcc, s[0:1]
	v_mul_f32_e32 v8, v19, v22
	v_div_fmas_f32 v15, v20, v32, v15
	v_fma_f32 v20, -v30, v17, 1.0
	v_div_scale_f32 v19, s[0:1], v4, v4, v8
	v_fmac_f32_e32 v17, v20, v17
	v_mul_f32_e32 v20, v31, v17
	v_fma_f32 v23, -v30, v20, v31
	v_mov_b32_dpp v25, v9 row_ror:8 row_mask:0xf bank_mask:0xf bound_ctrl:1
	v_fmac_f32_e32 v20, v23, v17
	v_fma_f32 v23, -v30, v20, v31
	s_mov_b64 vcc, s[2:3]
	v_mul_f32_e32 v13, v13, v25
	v_div_fmas_f32 v17, v23, v17, v20
	v_div_scale_f32 v20, vcc, v8, v4, v8
	v_mul_f32_e32 v6, 4.0, v6
	v_fma_f32 v13, v9, v14, -v13
	v_mul_f32_e32 v6, v6, v13
	v_div_scale_f32 v13, s[0:1], v16, v16, v6
	v_div_scale_f32 v14, s[0:1], v6, v16, v6
	v_add_f32_e32 v9, v9, v25
	v_div_fixup_f32 v12, v12, v4, v18
	v_add_f32_e32 v9, v9, v12
	v_div_fixup_f32 v12, v15, v16, v21
	v_rcp_f32_e32 v15, v19
	v_add_f32_e32 v9, v12, v9
	v_div_fixup_f32 v11, v17, v27, v11
	v_mov_b32_dpp v26, v1 row_ror:8 row_mask:0xf bank_mask:0xf bound_ctrl:1
	v_fma_f32 v12, -v19, v15, 1.0
	v_fmac_f32_e32 v15, v12, v15
	v_mul_f32_e32 v12, v20, v15
	v_fma_f32 v17, -v19, v12, v20
	v_fmac_f32_e32 v12, v17, v15
	v_rcp_f32_e32 v17, v13
	v_fma_f32 v18, -v19, v12, v20
	v_div_fmas_f32 v12, v18, v15, v12
	s_mov_b64 vcc, s[0:1]
	v_fma_f32 v15, -v13, v17, 1.0
	v_fmac_f32_e32 v17, v15, v17
	v_mul_f32_e32 v15, v14, v17
	v_fma_f32 v18, -v13, v15, v14
	v_fmac_f32_e32 v15, v18, v17
	v_fma_f32 v13, -v13, v15, v14
	v_div_fmas_f32 v13, v13, v17, v15
	v_mov_b32_dpp v15, v10 row_bcast:15 row_mask:0xf bank_mask:0xf bound_ctrl:1
	v_mov_b32_dpp v14, v16 row_bcast:15 row_mask:0xf bank_mask:0xf bound_ctrl:1
	v_sub_f32_e32 v10, v10, v15
	v_add_f32_e32 v17, v16, v14
	v_mul_f32_e32 v18, v16, v10
	v_div_scale_f32 v19, s[0:1], v17, v17, v18
	v_add_f32_e32 v1, v1, v26
	v_add_f32_e32 v1, v1, v11
	v_mul_f32_e32 v11, v10, v10
	v_div_fixup_f32 v8, v12, v4, v8
	v_div_scale_f32 v12, vcc, v18, v17, v18
	v_mul_f32_e32 v20, v11, v14
	v_mul_f32_e32 v20, v16, v20
	v_div_scale_f32 v21, s[0:1], v17, v17, v20
	v_add_f32_e32 v1, v8, v1
	v_div_scale_f32 v8, s[0:1], v20, v17, v20
	v_div_fixup_f32 v6, v13, v16, v6
	v_rcp_f32_e32 v13, v19
	v_mul_f32_e32 v24, v10, v11
	v_mul_f32_e32 v23, v17, v17
	v_add_f32_e32 v1, v6, v1
	v_fma_f32 v25, -v19, v13, 1.0
	v_fmac_f32_e32 v13, v25, v13
	v_mul_f32_e32 v25, v12, v13
	v_fma_f32 v26, -v19, v25, v12
	v_fmac_f32_e32 v25, v26, v13
	v_fma_f32 v12, -v19, v25, v12
	v_rcp_f32_e32 v26, v21
	v_div_fmas_f32 v12, v12, v13, v25
	s_mov_b64 vcc, s[0:1]
	v_mov_b32_dpp v6, v2 row_bcast:15 row_mask:0xf bank_mask:0xf bound_ctrl:1
	v_fma_f32 v13, -v21, v26, 1.0
	v_fmac_f32_e32 v26, v13, v26
	v_mul_f32_e32 v13, v8, v26
	v_fma_f32 v19, -v21, v13, v8
	v_fmac_f32_e32 v13, v19, v26
	v_fma_f32 v8, -v21, v13, v8
	v_div_fmas_f32 v8, v8, v26, v13
	v_mul_f32_e32 v13, v24, v14
	v_mul_f32_e32 v13, v16, v13
	v_sub_f32_e32 v19, v14, v16
	v_mul_f32_e32 v13, v19, v13
	v_div_scale_f32 v19, s[0:1], v23, v23, v13
	v_mov_b32_dpp v22, v3 row_bcast:15 row_mask:0xf bank_mask:0xf bound_ctrl:1
	v_cmp_lt_f32_e32 vcc, v2, v6
	v_mov_b32_dpp v21, v7 row_bcast:15 row_mask:0xf bank_mask:0xf bound_ctrl:1
	v_cndmask_b32_e32 v2, v6, v2, vcc
	v_cmp_gt_f32_e32 vcc, v3, v22
	v_cndmask_b32_e32 v3, v22, v3, vcc
	v_mul_f32_e32 v22, v16, v21
	v_div_fixup_f32 v6, v12, v17, v18
	v_div_scale_f32 v18, vcc, v13, v23, v13
	v_div_fixup_f32 v8, v8, v17, v20
	v_mul_f32_e32 v20, 0x40400000, v10
	v_fma_f32 v22, v7, v14, -v22
	v_mul_f32_e32 v20, v20, v22
	v_div_scale_f32 v22, s[0:1], v17, v17, v20
	v_div_scale_f32 v28, s[0:1], v20, v17, v20
	v_mul_f32_e32 v24, v10, v24
	v_add_f32_e32 v6, v6, v15
	v_rcp_f32_e32 v15, v19
	v_mul_f32_e32 v29, v14, v14
	v_mul_f32_e32 v24, v24, v14
	v_fma_f32 v30, -v16, v14, v29
	v_mul_f32_e32 v24, v16, v24
	v_fmac_f32_e32 v30, v16, v16
	v_mul_f32_e32 v27, v17, v23
	v_mul_f32_e32 v24, v30, v24
	v_div_scale_f32 v30, s[2:3], v27, v27, v24
	v_fma_f32 v31, -v19, v15, 1.0
	v_fmac_f32_e32 v15, v31, v15
	v_mul_f32_e32 v31, v18, v15
	v_fma_f32 v32, -v19, v31, v18
	v_fmac_f32_e32 v31, v32, v15
	v_rcp_f32_e32 v32, v22
	v_fma_f32 v18, -v19, v31, v18
	v_div_fmas_f32 v15, v18, v15, v31
	v_mul_f32_e32 v4, v4, v21
	v_fma_f32 v18, -v22, v32, 1.0
	v_fmac_f32_e32 v32, v18, v32
	v_mul_f32_e32 v18, v28, v32
	v_fma_f32 v19, -v22, v18, v28
	v_fmac_f32_e32 v18, v19, v32
	v_fma_f32 v19, -v22, v18, v28
	v_div_scale_f32 v28, s[2:3], v24, v27, v24
	v_mul_f32_e32 v11, 0x40c00000, v11
	v_fmac_f32_e32 v4, v29, v7
	v_mul_f32_e32 v4, v11, v4
	v_add_f32_e32 v12, v7, v21
	v_div_scale_f32 v7, s[8:9], v23, v23, v4
	v_rcp_f32_e32 v22, v30
	s_mov_b64 vcc, s[0:1]
	v_div_fmas_f32 v11, v19, v32, v18
	v_mov_b32_dpp v25, v9 row_bcast:15 row_mask:0xf bank_mask:0xf bound_ctrl:1
	v_fma_f32 v18, -v30, v22, 1.0
	v_fmac_f32_e32 v22, v18, v22
	v_div_scale_f32 v18, s[0:1], v4, v23, v4
	v_mul_f32_e32 v16, v16, v25
	v_add_f32_e32 v8, v12, v8
	v_add_f32_e32 v12, v9, v25
	v_mul_f32_e32 v10, 4.0, v10
	v_fma_f32 v9, v9, v14, -v16
	v_mul_f32_e32 v9, v10, v9
	v_div_scale_f32 v10, s[8:9], v17, v17, v9
	v_mul_f32_e32 v14, v28, v22
	v_fma_f32 v16, -v30, v14, v28
	v_fmac_f32_e32 v14, v16, v22
	v_rcp_f32_e32 v16, v7
	v_div_scale_f32 v19, s[8:9], v9, v17, v9
	v_fma_f32 v21, -v30, v14, v28
	s_mov_b64 vcc, s[2:3]
	v_div_fmas_f32 v14, v21, v22, v14
	v_fma_f32 v21, -v7, v16, 1.0
	v_fmac_f32_e32 v16, v21, v16
	v_mul_f32_e32 v21, v18, v16
	v_fma_f32 v22, -v7, v21, v18
	v_fmac_f32_e32 v21, v22, v16
	v_fma_f32 v7, -v7, v21, v18
	s_mov_b64 vcc, s[0:1]
	v_div_fmas_f32 v7, v7, v16, v21
	v_rcp_f32_e32 v18, v10
	v_div_fixup_f32 v13, v15, v23, v13
	s_mov_b64 vcc, s[8:9]
	v_mov_b32_dpp v26, v1 row_bcast:15 row_mask:0xf bank_mask:0xf bound_ctrl:1
	v_fma_f32 v15, -v10, v18, 1.0
	v_fmac_f32_e32 v18, v15, v18
	v_mul_f32_e32 v15, v19, v18
	v_fma_f32 v16, -v10, v15, v19
	v_fmac_f32_e32 v15, v16, v18
	v_fma_f32 v10, -v10, v15, v19
	v_div_fmas_f32 v10, v10, v18, v15
	v_add_f32_e32 v12, v12, v13
	v_div_fixup_f32 v11, v11, v17, v20
	v_add_f32_e32 v11, v11, v12
	v_add_f32_e32 v1, v1, v26
	v_div_fixup_f32 v12, v14, v27, v24
	v_add_f32_e32 v1, v1, v12
	v_div_fixup_f32 v4, v7, v23, v4
	v_mov_b32_dpp v12, v6 row_bcast:31 row_mask:0xf bank_mask:0xf bound_ctrl:1
	v_mov_b32_dpp v7, v17 row_bcast:31 row_mask:0xf bank_mask:0xf bound_ctrl:1
	v_sub_f32_e32 v6, v6, v12
	v_add_f32_e32 v13, v17, v7
	v_mul_f32_e32 v14, v17, v6
	v_div_scale_f32 v15, s[0:1], v13, v13, v14
	v_add_f32_e32 v1, v4, v1
	v_div_fixup_f32 v4, v10, v17, v9
	v_add_f32_e32 v1, v4, v1
	v_mul_f32_e32 v21, v6, v6
	v_mov_b32_dpp v4, v2 row_bcast:31 row_mask:0xf bank_mask:0xf bound_ctrl:1
	v_cmp_lt_f32_e32 vcc, v2, v4
	v_cndmask_b32_e32 v2, v4, v2, vcc
	v_div_scale_f32 v25, vcc, v14, v13, v14
	v_mul_f32_e32 v26, v21, v7
	v_mul_f32_e32 v26, v17, v26
	v_div_scale_f32 v27, s[0:1], v13, v13, v26
	v_mov_b32_dpp v9, v3 row_bcast:31 row_mask:0xf bank_mask:0xf bound_ctrl:1
	v_rcp_f32_e32 v4, v15
	v_cmp_gt_f32_e64 s[0:1], v3, v9
	v_cndmask_b32_e64 v3, v9, v3, s[0:1]
	v_mul_f32_e32 v22, v6, v21
	v_fma_f32 v9, -v15, v4, 1.0
	v_fmac_f32_e32 v4, v9, v4
	v_div_scale_f32 v9, s[0:1], v26, v13, v26
	v_mul_f32_e32 v24, v6, v22
	v_mul_f32_e32 v22, v22, v7
	;; [unrolled: 1-line block ×3, first 2 shown]
	v_sub_f32_e32 v28, v7, v17
	v_mul_f32_e32 v19, v13, v13
	v_mul_f32_e32 v22, v28, v22
	v_div_scale_f32 v28, s[2:3], v19, v19, v22
	v_mul_f32_e32 v29, v25, v4
	v_fma_f32 v30, -v15, v29, v25
	v_fmac_f32_e32 v29, v30, v4
	v_rcp_f32_e32 v30, v27
	v_fma_f32 v15, -v15, v29, v25
	v_div_fmas_f32 v4, v15, v4, v29
	v_mov_b32_dpp v10, v8 row_bcast:31 row_mask:0xf bank_mask:0xf bound_ctrl:1
	v_fma_f32 v15, -v27, v30, 1.0
	v_fmac_f32_e32 v30, v15, v30
	v_mul_f32_e32 v15, v9, v30
	v_fma_f32 v25, -v27, v15, v9
	v_fmac_f32_e32 v15, v25, v30
	v_fma_f32 v9, -v27, v15, v9
	s_mov_b64 vcc, s[0:1]
	v_mul_f32_e32 v29, v17, v10
	v_div_fmas_f32 v9, v9, v30, v15
	v_div_scale_f32 v25, vcc, v22, v19, v22
	v_mul_f32_e32 v27, 0x40400000, v6
	v_fma_f32 v29, v8, v7, -v29
	v_mul_f32_e32 v27, v27, v29
	v_div_scale_f32 v29, s[0:1], v13, v13, v27
	v_rcp_f32_e32 v15, v28
	v_mul_f32_e32 v31, v7, v7
	v_mul_f32_e32 v24, v24, v7
	v_fma_f32 v32, -v17, v7, v31
	v_fma_f32 v30, -v28, v15, 1.0
	v_fmac_f32_e32 v15, v30, v15
	v_div_scale_f32 v30, s[0:1], v27, v13, v27
	v_mul_f32_e32 v24, v17, v24
	v_mul_f32_e32 v33, v25, v15
	v_fma_f32 v34, -v28, v33, v25
	v_fmac_f32_e32 v33, v34, v15
	v_fmac_f32_e32 v32, v17, v17
	v_mul_f32_e32 v20, v13, v19
	v_rcp_f32_e32 v34, v29
	v_mul_f32_e32 v24, v32, v24
	v_fma_f32 v25, -v28, v33, v25
	v_div_scale_f32 v32, s[2:3], v20, v20, v24
	v_div_fmas_f32 v15, v25, v15, v33
	v_fma_f32 v25, -v29, v34, 1.0
	v_fmac_f32_e32 v34, v25, v34
	v_mul_f32_e32 v25, v30, v34
	v_fma_f32 v28, -v29, v25, v30
	v_fmac_f32_e32 v25, v28, v34
	v_fma_f32 v28, -v29, v25, v30
	s_mov_b64 vcc, s[0:1]
	v_div_fmas_f32 v25, v28, v34, v25
	v_div_scale_f32 v29, vcc, v24, v20, v24
	v_mul_f32_e32 v23, v23, v10
	v_mul_f32_e32 v21, 0x40c00000, v21
	v_fmac_f32_e32 v23, v31, v8
	v_mul_f32_e32 v21, v21, v23
	v_div_scale_f32 v23, s[0:1], v19, v19, v21
	v_mov_b32_dpp v16, v11 row_bcast:31 row_mask:0xf bank_mask:0xf bound_ctrl:1
	v_mul_f32_e32 v17, v17, v16
	v_rcp_f32_e32 v28, v32
	v_div_scale_f32 v31, s[0:1], v21, v19, v21
	v_mul_f32_e32 v6, 4.0, v6
	v_fma_f32 v7, v11, v7, -v17
	v_mul_f32_e32 v6, v6, v7
	v_div_scale_f32 v7, s[2:3], v13, v13, v6
	v_fma_f32 v30, -v32, v28, 1.0
	v_fmac_f32_e32 v28, v30, v28
	v_mul_f32_e32 v17, v29, v28
	v_fma_f32 v30, -v32, v17, v29
	v_fmac_f32_e32 v17, v30, v28
	v_div_scale_f32 v30, s[2:3], v6, v13, v6
	v_rcp_f32_e32 v33, v23
	v_fma_f32 v29, -v32, v17, v29
	v_div_fmas_f32 v17, v29, v28, v17
	s_mov_b64 vcc, s[0:1]
	v_fma_f32 v28, -v23, v33, 1.0
	v_fmac_f32_e32 v33, v28, v33
	v_mul_f32_e32 v28, v31, v33
	v_fma_f32 v29, -v23, v28, v31
	v_fmac_f32_e32 v28, v29, v33
	v_rcp_f32_e32 v29, v7
	v_fma_f32 v23, -v23, v28, v31
	v_div_fmas_f32 v23, v23, v33, v28
	s_mov_b64 vcc, s[2:3]
	v_fma_f32 v28, -v7, v29, 1.0
	v_fmac_f32_e32 v29, v28, v29
	v_mul_f32_e32 v28, v30, v29
	v_fma_f32 v31, -v7, v28, v30
	v_fmac_f32_e32 v28, v31, v29
	v_fma_f32 v7, -v7, v28, v30
	v_div_fmas_f32 v7, v7, v29, v28
	v_add_f32_e32 v8, v8, v10
	v_div_fixup_f32 v9, v9, v13, v26
	v_add_f32_e32 v8, v8, v9
	v_add_f32_e32 v9, v11, v16
	v_div_fixup_f32 v10, v15, v19, v22
	v_mov_b32_dpp v18, v1 row_bcast:31 row_mask:0xf bank_mask:0xf bound_ctrl:1
	v_add_f32_e32 v9, v9, v10
	v_div_fixup_f32 v10, v25, v13, v27
	v_add_f32_e32 v9, v10, v9
	v_add_f32_e32 v1, v1, v18
	v_div_fixup_f32 v10, v17, v20, v24
	v_mbcnt_lo_u32_b32 v5, -1, 0
	v_add_f32_e32 v1, v1, v10
	v_div_fixup_f32 v10, v23, v19, v21
	v_mbcnt_hi_u32_b32 v5, -1, v5
	v_add_f32_e32 v1, v10, v1
	v_div_fixup_f32 v6, v7, v13, v6
	v_div_fixup_f32 v4, v4, v13, v14
	v_add_f32_e32 v7, v6, v1
	v_lshlrev_b32_e32 v6, 2, v5
	v_add_f32_e32 v4, v4, v12
	v_or_b32_e32 v10, 0xfc, v6
	ds_bpermute_b32 v1, v10, v13
	ds_bpermute_b32 v2, v10, v2
	;; [unrolled: 1-line block ×7, first 2 shown]
	v_cmp_eq_u32_e32 vcc, 0, v5
	s_and_saveexec_b64 s[0:1], vcc
	s_cbranch_execz .LBB13_6
; %bb.5:
	v_lshrrev_b32_e32 v7, 6, v0
	v_mul_u32_u24_e32 v7, 28, v7
	s_waitcnt lgkmcnt(5)
	ds_write2_b32 v7, v1, v2 offset0:84 offset1:85
	s_waitcnt lgkmcnt(4)
	ds_write2_b32 v7, v3, v4 offset0:86 offset1:87
	;; [unrolled: 2-line block ×3, first 2 shown]
	s_waitcnt lgkmcnt(3)
	ds_write_b32 v7, v19 offset:360
.LBB13_6:
	s_or_b64 exec, exec, s[0:1]
	v_cmp_gt_u32_e32 vcc, 64, v0
	s_waitcnt lgkmcnt(0)
	s_barrier
	s_and_saveexec_b64 s[8:9], vcc
	s_cbranch_execz .LBB13_8
; %bb.7:
	v_and_b32_e32 v9, 3, v5
	v_mul_u32_u24_e32 v10, 28, v9
	ds_read2_b32 v[1:2], v10 offset0:84 offset1:85
	ds_read2_b32 v[3:4], v10 offset0:86 offset1:87
	ds_read2_b32 v[7:8], v10 offset0:88 offset1:89
	ds_read_b32 v10, v10 offset:360
	v_cmp_ne_u32_e32 vcc, 3, v9
	v_addc_co_u32_e32 v5, vcc, 0, v5, vcc
	v_lshlrev_b32_e32 v5, 2, v5
	s_waitcnt lgkmcnt(2)
	ds_bpermute_b32 v11, v5, v4
	ds_bpermute_b32 v9, v5, v1
	;; [unrolled: 1-line block ×4, first 2 shown]
	s_waitcnt lgkmcnt(5)
	ds_bpermute_b32 v18, v5, v7
	s_waitcnt lgkmcnt(4)
	v_sub_f32_e32 v11, v11, v4
	s_waitcnt lgkmcnt(3)
	v_add_f32_e32 v12, v1, v9
	v_mul_f32_e32 v13, v11, v9
	v_div_scale_f32 v14, s[0:1], v12, v12, v13
	v_div_scale_f32 v16, vcc, v13, v12, v13
	v_mul_f32_e32 v21, v11, v11
	v_mul_f32_e32 v24, v1, v21
	;; [unrolled: 1-line block ×3, first 2 shown]
	v_div_scale_f32 v26, s[0:1], v12, v12, v24
	v_mul_f32_e32 v23, v11, v21
	v_mul_f32_e32 v20, v12, v12
	s_waitcnt lgkmcnt(1)
	v_cmp_lt_f32_e64 s[2:3], v3, v17
	v_cndmask_b32_e64 v3, v3, v17, s[2:3]
	v_mul_f32_e32 v17, 0x40400000, v11
	ds_bpermute_b32 v19, v5, v8
	v_mul_f32_e32 v22, v12, v20
	v_rcp_f32_e32 v25, v14
	v_mul_f32_e32 v21, 0x40c00000, v21
	ds_bpermute_b32 v5, v5, v10
	v_fma_f32 v27, -v14, v25, 1.0
	v_fmac_f32_e32 v25, v27, v25
	v_mul_f32_e32 v27, v16, v25
	v_fma_f32 v28, -v14, v27, v16
	v_fmac_f32_e32 v27, v28, v25
	v_fma_f32 v14, -v14, v27, v16
	v_div_fmas_f32 v14, v14, v25, v27
	v_mul_f32_e32 v25, v1, v23
	v_div_scale_f32 v16, vcc, v24, v12, v24
	v_mul_f32_e32 v25, v25, v9
	v_sub_f32_e32 v27, v1, v9
	v_mul_f32_e32 v25, v27, v25
	v_div_scale_f32 v27, s[0:1], v20, v20, v25
	v_cmp_gt_f32_e64 s[0:1], v2, v15
	v_cndmask_b32_e64 v2, v2, v15, s[0:1]
	v_div_scale_f32 v28, s[0:1], v25, v20, v25
	v_rcp_f32_e32 v15, v26
	v_mul_f32_e32 v23, v11, v23
	v_mul_f32_e32 v23, v1, v23
	v_div_fixup_f32 v13, v14, v12, v13
	v_add_f32_e32 v4, v4, v13
	v_fma_f32 v13, -v26, v15, 1.0
	v_fmac_f32_e32 v15, v13, v15
	v_mul_f32_e32 v13, v16, v15
	v_fma_f32 v14, -v26, v13, v16
	v_fmac_f32_e32 v13, v14, v15
	v_rcp_f32_e32 v14, v27
	v_fma_f32 v16, -v26, v13, v16
	v_div_fmas_f32 v13, v16, v15, v13
	v_mul_f32_e32 v26, v7, v9
	v_fma_f32 v15, -v27, v14, 1.0
	v_fmac_f32_e32 v14, v15, v14
	s_waitcnt lgkmcnt(2)
	v_fma_f32 v26, v1, v18, -v26
	v_mul_f32_e32 v15, v28, v14
	v_mul_f32_e32 v17, v17, v26
	v_fma_f32 v16, -v27, v15, v28
	v_div_scale_f32 v26, s[2:3], v12, v12, v17
	v_fmac_f32_e32 v15, v16, v14
	v_fma_f32 v16, -v27, v15, v28
	s_mov_b64 vcc, s[0:1]
	v_div_fmas_f32 v14, v16, v14, v15
	v_div_scale_f32 v16, vcc, v17, v12, v17
	v_add_f32_e32 v15, v7, v18
	v_div_fixup_f32 v13, v13, v12, v24
	v_mul_f32_e32 v27, v1, v1
	v_add_f32_e32 v13, v15, v13
	v_fma_f32 v28, -v1, v9, v27
	v_mul_f32_e32 v23, v23, v9
	v_fmac_f32_e32 v28, v9, v9
	v_mul_f32_e32 v23, v28, v23
	v_rcp_f32_e32 v15, v26
	s_waitcnt lgkmcnt(1)
	v_add_f32_e32 v24, v8, v19
	v_div_scale_f32 v28, s[0:1], v22, v22, v23
	v_mul_f32_e32 v18, v27, v18
	v_div_fixup_f32 v14, v14, v20, v25
	v_add_f32_e32 v14, v24, v14
	v_fma_f32 v24, -v26, v15, 1.0
	v_fmac_f32_e32 v15, v24, v15
	v_mul_f32_e32 v24, v16, v15
	v_fma_f32 v25, -v26, v24, v16
	v_fmac_f32_e32 v24, v25, v15
	v_fma_f32 v16, -v26, v24, v16
	v_div_fmas_f32 v15, v16, v15, v24
	v_div_scale_f32 v25, vcc, v23, v22, v23
	v_mul_f32_e32 v16, v9, v9
	v_fmac_f32_e32 v18, v7, v16
	v_mul_f32_e32 v7, v21, v18
	v_div_scale_f32 v16, s[0:1], v20, v20, v7
	v_mul_f32_e32 v8, v8, v9
	v_rcp_f32_e32 v24, v28
	v_div_scale_f32 v21, s[0:1], v7, v20, v7
	v_mul_f32_e32 v11, 4.0, v11
	v_fma_f32 v1, v1, v19, -v8
	v_mul_f32_e32 v8, v11, v1
	v_div_scale_f32 v1, s[2:3], v12, v12, v8
	v_fma_f32 v18, -v28, v24, 1.0
	v_fmac_f32_e32 v24, v18, v24
	v_mul_f32_e32 v9, v25, v24
	v_fma_f32 v11, -v28, v9, v25
	v_fmac_f32_e32 v9, v11, v24
	v_div_scale_f32 v11, s[2:3], v8, v12, v8
	v_rcp_f32_e32 v18, v16
	v_fma_f32 v19, -v28, v9, v25
	v_div_fmas_f32 v9, v19, v24, v9
	s_mov_b64 vcc, s[0:1]
	v_fma_f32 v19, -v16, v18, 1.0
	v_fmac_f32_e32 v18, v19, v18
	v_mul_f32_e32 v19, v21, v18
	v_fma_f32 v24, -v16, v19, v21
	v_fmac_f32_e32 v19, v24, v18
	v_rcp_f32_e32 v24, v1
	v_fma_f32 v16, -v16, v19, v21
	v_div_fmas_f32 v16, v16, v18, v19
	s_mov_b64 vcc, s[2:3]
	v_fma_f32 v18, -v1, v24, 1.0
	v_fmac_f32_e32 v24, v18, v24
	v_mul_f32_e32 v18, v11, v24
	v_fma_f32 v19, -v1, v18, v11
	v_fmac_f32_e32 v18, v19, v24
	v_fma_f32 v1, -v1, v18, v11
	v_div_fmas_f32 v11, v1, v24, v18
	v_div_fixup_f32 v1, v15, v12, v17
	v_add_f32_e32 v14, v1, v14
	s_waitcnt lgkmcnt(0)
	v_add_f32_e32 v1, v10, v5
	v_or_b32_e32 v5, 8, v6
	ds_bpermute_b32 v10, v5, v4
	ds_bpermute_b32 v6, v5, v12
	v_div_fixup_f32 v9, v9, v22, v23
	v_add_f32_e32 v9, v1, v9
	v_div_fixup_f32 v7, v16, v20, v7
	s_waitcnt lgkmcnt(1)
	v_sub_f32_e32 v10, v10, v4
	s_waitcnt lgkmcnt(0)
	v_add_f32_e32 v1, v12, v6
	v_mul_f32_e32 v15, v10, v6
	v_div_scale_f32 v16, s[0:1], v1, v1, v15
	v_add_f32_e32 v7, v7, v9
	v_div_fixup_f32 v8, v11, v12, v8
	v_add_f32_e32 v7, v8, v7
	ds_bpermute_b32 v8, v5, v2
	v_mul_f32_e32 v17, v10, v10
	v_mul_f32_e32 v25, v12, v17
	ds_bpermute_b32 v9, v5, v3
	v_mul_f32_e32 v25, v25, v6
	s_waitcnt lgkmcnt(1)
	v_cmp_gt_f32_e32 vcc, v2, v8
	v_cndmask_b32_e32 v2, v2, v8, vcc
	v_div_scale_f32 v24, vcc, v15, v1, v15
	v_div_scale_f32 v26, s[0:1], v1, v1, v25
	v_rcp_f32_e32 v8, v16
	s_waitcnt lgkmcnt(0)
	v_cmp_lt_f32_e64 s[0:1], v3, v9
	v_cndmask_b32_e64 v3, v3, v9, s[0:1]
	v_mul_f32_e32 v22, v10, v17
	v_fma_f32 v9, -v16, v8, 1.0
	v_fmac_f32_e32 v8, v9, v8
	v_div_scale_f32 v9, s[0:1], v25, v1, v25
	v_mul_f32_e32 v23, v10, v22
	v_mul_f32_e32 v22, v12, v22
	;; [unrolled: 1-line block ×3, first 2 shown]
	v_sub_f32_e32 v27, v12, v6
	v_mul_f32_e32 v28, v24, v8
	v_fma_f32 v29, -v16, v28, v24
	v_fmac_f32_e32 v28, v29, v8
	v_rcp_f32_e32 v29, v26
	v_mul_f32_e32 v19, v1, v1
	v_mul_f32_e32 v22, v27, v22
	v_div_scale_f32 v27, s[2:3], v19, v19, v22
	ds_bpermute_b32 v11, v5, v13
	v_fma_f32 v16, -v16, v28, v24
	v_div_fmas_f32 v8, v16, v8, v28
	v_fma_f32 v16, -v26, v29, 1.0
	v_fmac_f32_e32 v29, v16, v29
	v_mul_f32_e32 v24, v9, v29
	v_fma_f32 v28, -v26, v24, v9
	v_mul_f32_e32 v30, v13, v6
	v_div_scale_f32 v16, s[2:3], v22, v19, v22
	v_fmac_f32_e32 v24, v28, v29
	v_mul_f32_e32 v28, 0x40400000, v10
	s_waitcnt lgkmcnt(0)
	v_fma_f32 v30, v12, v11, -v30
	v_mul_f32_e32 v28, v28, v30
	v_div_scale_f32 v30, s[28:29], v1, v1, v28
	v_fma_f32 v9, -v26, v24, v9
	s_mov_b64 vcc, s[0:1]
	v_div_fmas_f32 v9, v9, v29, v24
	v_div_scale_f32 v29, s[0:1], v28, v1, v28
	v_rcp_f32_e32 v26, v27
	v_mul_f32_e32 v23, v12, v23
	v_fma_f32 v31, -v12, v6, v20
	v_mul_f32_e32 v23, v23, v6
	v_fma_f32 v24, -v27, v26, 1.0
	v_fmac_f32_e32 v26, v24, v26
	v_mul_f32_e32 v24, v16, v26
	v_fma_f32 v32, -v27, v24, v16
	v_fmac_f32_e32 v24, v32, v26
	v_rcp_f32_e32 v32, v30
	v_fmac_f32_e32 v31, v6, v6
	v_mul_f32_e32 v21, v1, v19
	v_mul_f32_e32 v23, v31, v23
	v_fma_f32 v16, -v27, v24, v16
	s_mov_b64 vcc, s[2:3]
	v_div_scale_f32 v31, s[28:29], v21, v21, v23
	v_div_fmas_f32 v16, v16, v26, v24
	v_fma_f32 v24, -v30, v32, 1.0
	v_fmac_f32_e32 v32, v24, v32
	v_mul_f32_e32 v24, v29, v32
	v_fma_f32 v26, -v30, v24, v29
	v_fmac_f32_e32 v24, v26, v32
	v_fma_f32 v26, -v30, v24, v29
	s_mov_b64 vcc, s[0:1]
	v_div_fmas_f32 v24, v26, v32, v24
	v_div_scale_f32 v29, vcc, v23, v21, v23
	v_mul_f32_e32 v26, v6, v6
	v_mul_f32_e32 v20, v20, v11
	;; [unrolled: 1-line block ×3, first 2 shown]
	v_fmac_f32_e32 v20, v26, v13
	v_mul_f32_e32 v20, v17, v20
	v_div_scale_f32 v17, s[0:1], v19, v19, v20
	ds_bpermute_b32 v18, v5, v14
	v_mul_f32_e32 v6, v14, v6
	v_rcp_f32_e32 v27, v31
	v_div_scale_f32 v30, s[0:1], v20, v19, v20
	v_mul_f32_e32 v10, 4.0, v10
	s_waitcnt lgkmcnt(0)
	v_fma_f32 v6, v12, v18, -v6
	v_mul_f32_e32 v6, v10, v6
	v_div_scale_f32 v10, s[2:3], v1, v1, v6
	v_fma_f32 v26, -v31, v27, 1.0
	v_fmac_f32_e32 v27, v26, v27
	v_mul_f32_e32 v12, v29, v27
	v_fma_f32 v26, -v31, v12, v29
	v_fmac_f32_e32 v12, v26, v27
	v_div_scale_f32 v26, s[2:3], v6, v1, v6
	v_rcp_f32_e32 v32, v17
	v_fma_f32 v29, -v31, v12, v29
	v_div_fmas_f32 v12, v29, v27, v12
	s_mov_b64 vcc, s[0:1]
	v_fma_f32 v27, -v17, v32, 1.0
	v_fmac_f32_e32 v32, v27, v32
	v_mul_f32_e32 v27, v30, v32
	v_fma_f32 v29, -v17, v27, v30
	v_fmac_f32_e32 v27, v29, v32
	v_rcp_f32_e32 v29, v10
	v_fma_f32 v17, -v17, v27, v30
	v_div_fmas_f32 v27, v17, v32, v27
	s_mov_b64 vcc, s[2:3]
	v_fma_f32 v17, -v10, v29, 1.0
	v_fmac_f32_e32 v29, v17, v29
	v_mul_f32_e32 v17, v26, v29
	v_fma_f32 v30, -v10, v17, v26
	v_fmac_f32_e32 v17, v30, v29
	v_fma_f32 v10, -v10, v17, v26
	v_div_fmas_f32 v10, v10, v29, v17
	ds_bpermute_b32 v5, v5, v7
	v_div_fixup_f32 v8, v8, v1, v15
	v_add_f32_e32 v4, v4, v8
	v_add_f32_e32 v8, v13, v11
	v_div_fixup_f32 v9, v9, v1, v25
	s_waitcnt lgkmcnt(0)
	v_add_f32_e32 v5, v7, v5
	v_div_fixup_f32 v7, v12, v21, v23
	v_add_f32_e32 v17, v8, v9
	v_add_f32_e32 v8, v14, v18
	v_div_fixup_f32 v9, v16, v19, v22
	v_add_f32_e32 v5, v5, v7
	v_div_fixup_f32 v7, v27, v19, v20
	;; [unrolled: 2-line block ×4, first 2 shown]
	v_add_f32_e32 v18, v9, v8
	v_add_f32_e32 v19, v6, v5
.LBB13_8:
	s_or_b64 exec, exec, s[8:9]
	s_branch .LBB13_53
.LBB13_9:
	s_mov_b64 s[28:29], 0
                                        ; implicit-def: $vgpr14
                                        ; implicit-def: $vgpr8
	s_cbranch_execnz .LBB13_90
	s_branch .LBB13_98
.LBB13_10:
	s_mov_b64 s[12:13], -1
.LBB13_11:
	s_mov_b64 s[28:29], 0
                                        ; implicit-def: $vgpr14
                                        ; implicit-def: $vgpr8
	s_and_b64 vcc, exec, s[12:13]
	s_cbranch_vccz .LBB13_58
.LBB13_12:
	s_cmp_eq_u32 s33, 2
	s_cbranch_scc0 .LBB13_19
; %bb.13:
	s_lshl_b32 s14, s6, 9
	s_lshr_b64 s[0:1], s[26:27], 9
	s_mul_i32 s2, s6, 0x3800
	s_mul_hi_u32 s3, s14, 28
	s_add_u32 s12, s24, s2
	s_mov_b32 s7, 0
	s_addc_u32 s13, s25, s3
	s_cmp_lg_u64 s[0:1], s[6:7]
	s_cbranch_scc0 .LBB13_59
; %bb.14:
	v_mad_u64_u32 v[12:13], s[0:1], v0, 28, s[12:13]
	s_waitcnt lgkmcnt(3)
	v_add_co_u32_e32 v14, vcc, 0x1c00, v12
	s_mov_b64 s[0:1], vcc
	v_add_co_u32_e32 v15, vcc, 0x1000, v12
	global_load_dwordx4 v[1:4], v[12:13], off
	v_addc_co_u32_e32 v16, vcc, 0, v13, vcc
	s_waitcnt lgkmcnt(0)
	global_load_dwordx4 v[5:8], v[15:16], off offset:3072
	global_load_dwordx3 v[9:11], v[12:13], off offset:16
	v_addc_co_u32_e64 v15, vcc, 0, v13, s[0:1]
	global_load_dwordx3 v[12:14], v[14:15], off offset:16
	s_waitcnt vmcnt(3)
	v_mul_f32_e32 v15, v1, v1
	s_waitcnt vmcnt(2)
	v_cmp_lt_f32_e32 vcc, v6, v2
	v_sub_f32_e32 v8, v8, v4
	v_cndmask_b32_e32 v2, v2, v6, vcc
	v_cmp_lt_f32_e32 vcc, v3, v7
	s_waitcnt vmcnt(1)
	v_mul_f32_e32 v19, v9, v5
	v_mul_f32_e32 v16, v5, v5
	v_add_f32_e32 v17, v1, v5
	v_cndmask_b32_e32 v3, v3, v7, vcc
	s_waitcnt vmcnt(0)
	v_add_f32_e32 v6, v9, v12
	v_add_f32_e32 v7, v10, v13
	;; [unrolled: 1-line block ×3, first 2 shown]
	v_fma_f32 v14, -v1, v5, v15
	v_mul_f32_e32 v15, v15, v12
	v_mul_f32_e32 v10, v10, v5
	;; [unrolled: 1-line block ×5, first 2 shown]
	v_fma_f32 v12, v1, v12, -v19
	v_fmac_f32_e32 v15, v9, v16
	v_mul_f32_e32 v9, 4.0, v8
	v_fma_f32 v10, v1, v13, -v10
	v_mul_f32_e32 v16, v8, v21
	v_div_scale_f32 v19, s[0:1], v17, v17, v22
	v_mul_f32_e32 v25, v1, v21
	v_mul_f32_e32 v12, v23, v12
	;; [unrolled: 1-line block ×7, first 2 shown]
	v_div_scale_f32 v23, s[0:1], v17, v17, v12
	v_sub_f32_e32 v18, v1, v5
	v_mul_f32_e32 v15, v21, v15
	v_div_scale_f32 v21, s[2:3], v17, v17, v10
	v_mul_f32_e32 v16, v5, v16
	v_mul_f32_e32 v20, v17, v17
	;; [unrolled: 1-line block ×4, first 2 shown]
	v_fmac_f32_e32 v14, v5, v5
	v_mul_f32_e32 v1, v5, v1
	v_div_scale_f32 v5, s[2:3], v20, v20, v8
	v_mul_f32_e32 v13, v17, v20
	v_div_scale_f32 v24, vcc, v22, v17, v22
	v_mul_f32_e32 v1, v14, v1
	v_div_scale_f32 v14, s[2:3], v13, v13, v1
	v_div_scale_f32 v16, s[2:3], v10, v17, v10
	;; [unrolled: 1-line block ×6, first 2 shown]
	v_rcp_f32_e32 v27, v19
	v_rcp_f32_e32 v29, v23
	;; [unrolled: 1-line block ×4, first 2 shown]
	v_fma_f32 v31, -v19, v27, 1.0
	v_fmac_f32_e32 v27, v31, v27
	v_fma_f32 v31, -v23, v29, 1.0
	v_mul_f32_e32 v34, v24, v27
	v_fmac_f32_e32 v29, v31, v29
	v_fma_f32 v31, -v21, v30, 1.0
	v_rcp_f32_e32 v33, v14
	v_fmac_f32_e32 v30, v31, v30
	v_fma_f32 v31, -v19, v34, v24
	v_fmac_f32_e32 v34, v31, v27
	v_mul_f32_e32 v31, v16, v30
	v_fma_f32 v36, -v5, v32, 1.0
	v_fma_f32 v19, -v19, v34, v24
	v_fmac_f32_e32 v32, v36, v32
	v_fma_f32 v24, -v21, v31, v16
	v_mul_f32_e32 v35, v25, v29
	v_fmac_f32_e32 v31, v24, v30
	v_mul_f32_e32 v24, v26, v32
	v_fma_f32 v37, -v23, v35, v25
	v_fma_f32 v36, -v14, v33, 1.0
	v_fma_f32 v16, -v21, v31, v16
	v_fma_f32 v21, -v5, v24, v26
	v_fmac_f32_e32 v35, v37, v29
	v_div_fmas_f32 v19, v19, v27, v34
	v_fmac_f32_e32 v33, v36, v33
	s_mov_b64 vcc, s[2:3]
	v_fmac_f32_e32 v24, v21, v32
	v_fma_f32 v23, -v23, v35, v25
	v_mul_f32_e32 v25, v28, v33
	v_div_fmas_f32 v16, v16, v30, v31
	v_fma_f32 v5, -v5, v24, v26
	s_mov_b64 vcc, s[8:9]
	v_fma_f32 v21, -v14, v25, v28
	v_div_fmas_f32 v5, v5, v32, v24
	s_mov_b64 vcc, s[0:1]
	v_fmac_f32_e32 v25, v21, v33
	v_div_fmas_f32 v21, v23, v29, v35
	v_fma_f32 v14, -v14, v25, v28
	s_mov_b64 vcc, s[10:11]
	v_div_fmas_f32 v14, v14, v33, v25
	v_div_scale_f32 v23, vcc, v15, v20, v15
	v_div_scale_f32 v24, s[0:1], v17, v17, v9
	v_div_scale_f32 v25, s[0:1], v9, v17, v9
	v_rcp_f32_e32 v26, v18
	v_div_fixup_f32 v10, v16, v17, v10
	v_add_f32_e32 v6, v6, v10
	v_div_fixup_f32 v5, v5, v20, v8
	v_add_f32_e32 v5, v7, v5
	v_div_fixup_f32 v19, v19, v17, v22
	v_div_fixup_f32 v7, v21, v17, v12
	v_add_f32_e32 v7, v7, v5
	v_fma_f32 v5, -v18, v26, 1.0
	v_fmac_f32_e32 v26, v5, v26
	v_mul_f32_e32 v5, v23, v26
	v_fma_f32 v8, -v18, v5, v23
	v_fmac_f32_e32 v5, v8, v26
	v_rcp_f32_e32 v8, v24
	v_fma_f32 v10, -v18, v5, v23
	v_div_fmas_f32 v5, v10, v26, v5
	v_add_f32_e32 v4, v4, v19
	v_fma_f32 v10, -v24, v8, 1.0
	v_fmac_f32_e32 v8, v10, v8
	v_mul_f32_e32 v10, v25, v8
	v_fma_f32 v12, -v24, v10, v25
	v_fmac_f32_e32 v10, v12, v8
	v_fma_f32 v12, -v24, v10, v25
	s_mov_b64 vcc, s[0:1]
	v_div_fmas_f32 v8, v12, v8, v10
	v_mov_b32_dpp v12, v4 quad_perm:[1,0,3,2] row_mask:0xf bank_mask:0xf bound_ctrl:1
	v_mov_b32_dpp v10, v17 quad_perm:[1,0,3,2] row_mask:0xf bank_mask:0xf bound_ctrl:1
	v_sub_f32_e32 v4, v4, v12
	v_div_fixup_f32 v1, v14, v13, v1
	v_add_f32_e32 v13, v17, v10
	v_mul_f32_e32 v14, v17, v4
	v_div_scale_f32 v16, s[0:1], v13, v13, v14
	v_add_f32_e32 v1, v11, v1
	v_mul_f32_e32 v11, v4, v4
	v_div_fixup_f32 v5, v5, v20, v15
	v_div_scale_f32 v15, vcc, v14, v13, v14
	v_mul_f32_e32 v18, v11, v10
	v_mul_f32_e32 v18, v17, v18
	v_div_scale_f32 v19, s[0:1], v13, v13, v18
	v_add_f32_e32 v1, v5, v1
	v_div_fixup_f32 v5, v8, v17, v9
	v_div_scale_f32 v8, s[0:1], v18, v13, v18
	v_mul_f32_e32 v22, v4, v11
	v_rcp_f32_e32 v9, v16
	v_mul_f32_e32 v21, v13, v13
	v_mul_f32_e32 v29, v10, v10
	v_fma_f32 v30, -v17, v10, v29
	v_fma_f32 v23, -v16, v9, 1.0
	v_fmac_f32_e32 v9, v23, v9
	v_mul_f32_e32 v23, v15, v9
	v_fma_f32 v24, -v16, v23, v15
	v_fmac_f32_e32 v23, v24, v9
	v_rcp_f32_e32 v24, v19
	v_fma_f32 v15, -v16, v23, v15
	v_div_fmas_f32 v9, v15, v9, v23
	s_mov_b64 vcc, s[0:1]
	v_fma_f32 v15, -v19, v24, 1.0
	v_fmac_f32_e32 v24, v15, v24
	v_mul_f32_e32 v15, v8, v24
	v_fma_f32 v16, -v19, v15, v8
	v_fmac_f32_e32 v15, v16, v24
	v_fma_f32 v8, -v19, v15, v8
	v_div_fmas_f32 v8, v8, v24, v15
	v_mul_f32_e32 v16, v22, v10
	v_mul_f32_e32 v16, v17, v16
	v_sub_f32_e32 v19, v10, v17
	v_mul_f32_e32 v16, v19, v16
	v_div_scale_f32 v19, s[2:3], v21, v21, v16
	v_mov_b32_dpp v15, v2 quad_perm:[1,0,3,2] row_mask:0xf bank_mask:0xf bound_ctrl:1
	v_mov_b32_dpp v23, v3 quad_perm:[1,0,3,2] row_mask:0xf bank_mask:0xf bound_ctrl:1
	v_cmp_lt_f32_e32 vcc, v2, v15
	v_cndmask_b32_e32 v2, v15, v2, vcc
	v_cmp_gt_f32_e32 vcc, v3, v23
	v_mov_b32_dpp v24, v6 quad_perm:[1,0,3,2] row_mask:0xf bank_mask:0xf bound_ctrl:1
	v_cndmask_b32_e32 v3, v23, v3, vcc
	v_div_scale_f32 v15, vcc, v16, v21, v16
	v_mul_f32_e32 v23, v17, v24
	v_div_fixup_f32 v8, v8, v13, v18
	v_mul_f32_e32 v18, 0x40400000, v4
	v_fma_f32 v23, v6, v10, -v23
	v_mul_f32_e32 v18, v18, v23
	v_div_scale_f32 v23, s[0:1], v13, v13, v18
	v_mul_f32_e32 v22, v4, v22
	v_div_fixup_f32 v9, v9, v13, v14
	v_mul_f32_e32 v22, v22, v10
	v_add_f32_e32 v9, v9, v12
	v_rcp_f32_e32 v12, v19
	v_div_scale_f32 v28, s[0:1], v18, v13, v18
	v_mul_f32_e32 v22, v17, v22
	v_fmac_f32_e32 v30, v17, v17
	v_mul_f32_e32 v27, v13, v21
	v_mul_f32_e32 v22, v30, v22
	v_div_scale_f32 v30, s[2:3], v27, v27, v22
	v_add_f32_e32 v14, v6, v24
	v_add_f32_e32 v8, v14, v8
	v_fma_f32 v14, -v19, v12, 1.0
	v_fmac_f32_e32 v12, v14, v12
	v_mul_f32_e32 v14, v15, v12
	v_fma_f32 v31, -v19, v14, v15
	v_fmac_f32_e32 v14, v31, v12
	v_div_scale_f32 v31, s[2:3], v22, v27, v22
	v_rcp_f32_e32 v32, v23
	v_fma_f32 v15, -v19, v14, v15
	v_div_fmas_f32 v12, v15, v12, v14
	s_mov_b64 vcc, s[0:1]
	v_fma_f32 v14, -v23, v32, 1.0
	v_fmac_f32_e32 v32, v14, v32
	v_mul_f32_e32 v14, v28, v32
	v_fma_f32 v15, -v23, v14, v28
	v_fmac_f32_e32 v14, v15, v32
	v_rcp_f32_e32 v15, v30
	v_fma_f32 v19, -v23, v14, v28
	v_mul_f32_e32 v20, v20, v24
	v_div_fmas_f32 v14, v19, v32, v14
	v_fma_f32 v19, -v30, v15, 1.0
	v_mul_f32_e32 v11, 0x40c00000, v11
	v_fmac_f32_e32 v20, v6, v29
	v_fmac_f32_e32 v15, v19, v15
	v_mul_f32_e32 v6, v11, v20
	v_mul_f32_e32 v19, v31, v15
	v_div_scale_f32 v11, s[0:1], v21, v21, v6
	v_fma_f32 v23, -v30, v19, v31
	v_fmac_f32_e32 v19, v23, v15
	v_fma_f32 v23, -v30, v19, v31
	s_mov_b64 vcc, s[2:3]
	v_mov_b32_dpp v25, v7 quad_perm:[1,0,3,2] row_mask:0xf bank_mask:0xf bound_ctrl:1
	v_div_fmas_f32 v15, v23, v15, v19
	v_mul_f32_e32 v17, v17, v25
	v_div_scale_f32 v19, vcc, v6, v21, v6
	v_mul_f32_e32 v4, 4.0, v4
	v_fma_f32 v10, v7, v10, -v17
	v_mul_f32_e32 v4, v4, v10
	v_div_scale_f32 v10, s[0:1], v13, v13, v4
	v_add_f32_e32 v7, v7, v25
	v_div_fixup_f32 v12, v12, v21, v16
	v_add_f32_e32 v7, v7, v12
	v_div_fixup_f32 v12, v14, v13, v18
	v_div_scale_f32 v14, s[0:1], v4, v13, v4
	v_rcp_f32_e32 v16, v11
	v_add_f32_e32 v7, v12, v7
	v_div_fixup_f32 v12, v15, v27, v22
	v_add_f32_e32 v1, v5, v1
	v_fma_f32 v15, -v11, v16, 1.0
	v_fmac_f32_e32 v16, v15, v16
	v_mul_f32_e32 v15, v19, v16
	v_fma_f32 v17, -v11, v15, v19
	v_fmac_f32_e32 v15, v17, v16
	v_rcp_f32_e32 v17, v10
	v_fma_f32 v11, -v11, v15, v19
	v_div_fmas_f32 v11, v11, v16, v15
	s_mov_b64 vcc, s[0:1]
	v_fma_f32 v15, -v10, v17, 1.0
	v_fmac_f32_e32 v17, v15, v17
	v_mul_f32_e32 v15, v14, v17
	v_fma_f32 v16, -v10, v15, v14
	v_fmac_f32_e32 v15, v16, v17
	v_fma_f32 v10, -v10, v15, v14
	v_div_fmas_f32 v10, v10, v17, v15
	v_mov_b32_dpp v15, v9 quad_perm:[2,3,0,1] row_mask:0xf bank_mask:0xf bound_ctrl:1
	v_mov_b32_dpp v14, v13 quad_perm:[2,3,0,1] row_mask:0xf bank_mask:0xf bound_ctrl:1
	v_sub_f32_e32 v9, v9, v15
	v_add_f32_e32 v16, v13, v14
	v_mul_f32_e32 v17, v13, v9
	v_div_scale_f32 v18, s[0:1], v16, v16, v17
	v_mov_b32_dpp v26, v1 quad_perm:[1,0,3,2] row_mask:0xf bank_mask:0xf bound_ctrl:1
	v_add_f32_e32 v1, v1, v26
	v_div_fixup_f32 v6, v11, v21, v6
	v_mul_f32_e32 v11, v9, v9
	v_add_f32_e32 v1, v1, v12
	v_div_scale_f32 v12, vcc, v17, v16, v17
	v_mul_f32_e32 v19, v11, v14
	v_mul_f32_e32 v19, v13, v19
	v_div_scale_f32 v20, s[0:1], v16, v16, v19
	v_add_f32_e32 v1, v6, v1
	v_div_scale_f32 v6, s[0:1], v19, v16, v19
	v_div_fixup_f32 v4, v10, v13, v4
	v_rcp_f32_e32 v10, v18
	v_mul_f32_e32 v24, v9, v11
	v_mul_f32_e32 v23, v16, v16
	v_add_f32_e32 v1, v4, v1
	v_fma_f32 v25, -v18, v10, 1.0
	v_fmac_f32_e32 v10, v25, v10
	v_mul_f32_e32 v25, v12, v10
	v_fma_f32 v26, -v18, v25, v12
	v_fmac_f32_e32 v25, v26, v10
	v_fma_f32 v12, -v18, v25, v12
	v_rcp_f32_e32 v26, v20
	v_div_fmas_f32 v10, v12, v10, v25
	s_mov_b64 vcc, s[0:1]
	v_mov_b32_dpp v4, v2 quad_perm:[2,3,0,1] row_mask:0xf bank_mask:0xf bound_ctrl:1
	v_fma_f32 v12, -v20, v26, 1.0
	v_fmac_f32_e32 v26, v12, v26
	v_mul_f32_e32 v12, v6, v26
	v_fma_f32 v18, -v20, v12, v6
	v_fmac_f32_e32 v12, v18, v26
	v_fma_f32 v6, -v20, v12, v6
	v_div_fmas_f32 v6, v6, v26, v12
	v_mul_f32_e32 v12, v24, v14
	v_mul_f32_e32 v12, v13, v12
	v_sub_f32_e32 v18, v14, v13
	v_mul_f32_e32 v12, v18, v12
	v_div_scale_f32 v18, s[0:1], v23, v23, v12
	v_mov_b32_dpp v22, v3 quad_perm:[2,3,0,1] row_mask:0xf bank_mask:0xf bound_ctrl:1
	v_cmp_lt_f32_e32 vcc, v2, v4
	v_mov_b32_dpp v20, v8 quad_perm:[2,3,0,1] row_mask:0xf bank_mask:0xf bound_ctrl:1
	v_cndmask_b32_e32 v2, v4, v2, vcc
	v_cmp_gt_f32_e32 vcc, v3, v22
	v_cndmask_b32_e32 v3, v22, v3, vcc
	v_mul_f32_e32 v22, v13, v20
	v_div_fixup_f32 v4, v10, v16, v17
	v_div_scale_f32 v17, vcc, v12, v23, v12
	v_div_fixup_f32 v6, v6, v16, v19
	v_mul_f32_e32 v19, 0x40400000, v9
	v_fma_f32 v22, v8, v14, -v22
	v_mul_f32_e32 v19, v19, v22
	v_div_scale_f32 v22, s[0:1], v16, v16, v19
	v_div_scale_f32 v28, s[0:1], v19, v16, v19
	v_mul_f32_e32 v24, v9, v24
	v_add_f32_e32 v4, v4, v15
	v_rcp_f32_e32 v15, v18
	v_mul_f32_e32 v29, v14, v14
	v_mul_f32_e32 v24, v24, v14
	v_fma_f32 v30, -v13, v14, v29
	v_mul_f32_e32 v24, v13, v24
	v_fmac_f32_e32 v30, v13, v13
	v_mul_f32_e32 v27, v16, v23
	v_mul_f32_e32 v24, v30, v24
	v_div_scale_f32 v30, s[2:3], v27, v27, v24
	v_fma_f32 v31, -v18, v15, 1.0
	v_fmac_f32_e32 v15, v31, v15
	v_mul_f32_e32 v31, v17, v15
	v_fma_f32 v32, -v18, v31, v17
	v_fmac_f32_e32 v31, v32, v15
	v_rcp_f32_e32 v32, v22
	v_fma_f32 v17, -v18, v31, v17
	v_div_fmas_f32 v15, v17, v15, v31
	v_add_f32_e32 v10, v8, v20
	v_fma_f32 v17, -v22, v32, 1.0
	v_fmac_f32_e32 v32, v17, v32
	v_mul_f32_e32 v17, v28, v32
	v_fma_f32 v18, -v22, v17, v28
	v_fmac_f32_e32 v17, v18, v32
	v_mul_f32_e32 v20, v21, v20
	v_fma_f32 v18, -v22, v17, v28
	v_div_scale_f32 v28, s[2:3], v24, v27, v24
	v_mul_f32_e32 v11, 0x40c00000, v11
	v_fmac_f32_e32 v20, v29, v8
	v_mul_f32_e32 v8, v11, v20
	v_div_scale_f32 v11, s[8:9], v23, v23, v8
	v_rcp_f32_e32 v22, v30
	s_mov_b64 vcc, s[0:1]
	v_div_fmas_f32 v17, v18, v32, v17
	v_mov_b32_dpp v25, v7 quad_perm:[2,3,0,1] row_mask:0xf bank_mask:0xf bound_ctrl:1
	v_fma_f32 v18, -v30, v22, 1.0
	v_fmac_f32_e32 v22, v18, v22
	v_div_scale_f32 v18, s[0:1], v8, v23, v8
	v_mul_f32_e32 v13, v13, v25
	v_add_f32_e32 v6, v10, v6
	v_add_f32_e32 v10, v7, v25
	v_fma_f32 v7, v7, v14, -v13
	v_mul_f32_e32 v13, v28, v22
	v_mul_f32_e32 v9, 4.0, v9
	v_fma_f32 v14, -v30, v13, v28
	v_mul_f32_e32 v7, v9, v7
	v_fmac_f32_e32 v13, v14, v22
	v_rcp_f32_e32 v14, v11
	v_div_scale_f32 v9, s[8:9], v16, v16, v7
	v_fma_f32 v21, -v30, v13, v28
	s_mov_b64 vcc, s[2:3]
	v_div_fmas_f32 v13, v21, v22, v13
	v_fma_f32 v21, -v11, v14, 1.0
	v_fmac_f32_e32 v14, v21, v14
	v_mul_f32_e32 v21, v18, v14
	v_div_scale_f32 v20, s[8:9], v7, v16, v7
	v_fma_f32 v22, -v11, v21, v18
	v_fmac_f32_e32 v21, v22, v14
	v_fma_f32 v11, -v11, v21, v18
	s_mov_b64 vcc, s[0:1]
	v_div_fmas_f32 v11, v11, v14, v21
	v_div_fixup_f32 v12, v15, v23, v12
	v_rcp_f32_e32 v18, v9
	v_mov_b32_dpp v26, v1 quad_perm:[2,3,0,1] row_mask:0xf bank_mask:0xf bound_ctrl:1
	v_add_f32_e32 v10, v10, v12
	v_div_fixup_f32 v12, v17, v16, v19
	v_fma_f32 v14, -v9, v18, 1.0
	v_fmac_f32_e32 v18, v14, v18
	v_add_f32_e32 v10, v12, v10
	v_add_f32_e32 v1, v1, v26
	v_mul_f32_e32 v14, v20, v18
	v_fma_f32 v15, -v9, v14, v20
	v_div_fixup_f32 v12, v13, v27, v24
	v_fmac_f32_e32 v14, v15, v18
	v_add_f32_e32 v1, v1, v12
	v_mov_b32_dpp v12, v4 row_ror:4 row_mask:0xf bank_mask:0xf bound_ctrl:1
	v_fma_f32 v9, -v9, v14, v20
	s_mov_b64 vcc, s[8:9]
	v_div_fixup_f32 v8, v11, v23, v8
	v_mov_b32_dpp v11, v16 row_ror:4 row_mask:0xf bank_mask:0xf bound_ctrl:1
	v_sub_f32_e32 v4, v4, v12
	v_div_fmas_f32 v9, v9, v18, v14
	v_add_f32_e32 v13, v16, v11
	v_mul_f32_e32 v14, v16, v4
	v_div_scale_f32 v15, s[0:1], v13, v13, v14
	v_add_f32_e32 v1, v8, v1
	v_div_scale_f32 v8, vcc, v14, v13, v14
	v_mul_f32_e32 v17, v4, v4
	v_mul_f32_e32 v18, v17, v11
	;; [unrolled: 1-line block ×3, first 2 shown]
	v_div_scale_f32 v19, s[0:1], v13, v13, v18
	v_mul_f32_e32 v26, v4, v17
	v_mul_f32_e32 v27, v4, v26
	;; [unrolled: 1-line block ×5, first 2 shown]
	v_mov_b32_dpp v20, v6 row_ror:4 row_mask:0xf bank_mask:0xf bound_ctrl:1
	v_rcp_f32_e32 v24, v15
	v_mul_f32_e32 v32, v16, v20
	v_mul_f32_e32 v31, 0x40400000, v4
	v_fma_f32 v32, v6, v11, -v32
	v_fma_f32 v28, -v15, v24, 1.0
	v_fmac_f32_e32 v24, v28, v24
	v_mul_f32_e32 v28, v8, v24
	v_fma_f32 v29, -v15, v28, v8
	v_fmac_f32_e32 v28, v29, v24
	v_fma_f32 v8, -v15, v28, v8
	v_div_fmas_f32 v8, v8, v24, v28
	v_div_scale_f32 v24, vcc, v18, v13, v18
	v_sub_f32_e32 v28, v11, v16
	v_mul_f32_e32 v26, v28, v26
	v_div_scale_f32 v28, s[0:1], v22, v22, v26
	v_rcp_f32_e32 v15, v19
	v_div_scale_f32 v30, s[0:1], v26, v22, v26
	v_mul_f32_e32 v31, v31, v32
	v_div_scale_f32 v32, s[2:3], v13, v13, v31
	v_fma_f32 v29, -v19, v15, 1.0
	v_fmac_f32_e32 v15, v29, v15
	v_mul_f32_e32 v27, v27, v11
	v_mul_f32_e32 v27, v16, v27
	v_mul_f32_e32 v29, v24, v15
	v_fma_f32 v33, -v19, v29, v24
	v_fmac_f32_e32 v29, v33, v15
	v_div_scale_f32 v33, s[2:3], v31, v13, v31
	v_rcp_f32_e32 v34, v28
	v_fma_f32 v19, -v19, v29, v24
	v_div_fmas_f32 v15, v19, v15, v29
	s_mov_b64 vcc, s[0:1]
	v_fma_f32 v19, -v28, v34, 1.0
	v_fmac_f32_e32 v34, v19, v34
	v_mul_f32_e32 v19, v30, v34
	v_fma_f32 v24, -v28, v19, v30
	v_fmac_f32_e32 v19, v24, v34
	v_rcp_f32_e32 v24, v32
	v_fma_f32 v28, -v28, v19, v30
	v_div_fmas_f32 v19, v28, v34, v19
	s_mov_b64 vcc, s[2:3]
	v_fma_f32 v28, -v32, v24, 1.0
	v_fmac_f32_e32 v24, v28, v24
	v_mul_f32_e32 v28, v33, v24
	v_fma_f32 v29, -v32, v28, v33
	v_fmac_f32_e32 v28, v29, v24
	v_fma_f32 v29, -v32, v28, v33
	v_div_fmas_f32 v24, v29, v24, v28
	v_mul_f32_e32 v28, v11, v11
	v_fma_f32 v29, -v16, v11, v28
	v_fmac_f32_e32 v29, v16, v16
	v_mul_f32_e32 v25, v13, v22
	v_mul_f32_e32 v27, v29, v27
	v_div_scale_f32 v29, s[0:1], v25, v25, v27
	v_div_fixup_f32 v7, v9, v16, v7
	v_add_f32_e32 v1, v7, v1
	v_mov_b32_dpp v9, v3 row_ror:4 row_mask:0xf bank_mask:0xf bound_ctrl:1
	v_mov_b32_dpp v7, v2 row_ror:4 row_mask:0xf bank_mask:0xf bound_ctrl:1
	v_cmp_lt_f32_e32 vcc, v2, v7
	v_cndmask_b32_e32 v2, v7, v2, vcc
	v_cmp_gt_f32_e32 vcc, v3, v9
	v_cndmask_b32_e32 v3, v9, v3, vcc
	v_div_fixup_f32 v7, v8, v13, v14
	v_div_scale_f32 v14, vcc, v27, v25, v27
	v_div_fixup_f32 v9, v15, v13, v18
	v_mul_f32_e32 v15, 0x40c00000, v17
	v_mul_f32_e32 v17, v23, v20
	v_fmac_f32_e32 v17, v28, v6
	v_add_f32_e32 v8, v6, v20
	v_mul_f32_e32 v6, v15, v17
	v_div_scale_f32 v15, s[0:1], v22, v22, v6
	v_mov_b32_dpp v21, v10 row_ror:4 row_mask:0xf bank_mask:0xf bound_ctrl:1
	v_add_f32_e32 v7, v7, v12
	v_add_f32_e32 v8, v8, v9
	;; [unrolled: 1-line block ×3, first 2 shown]
	v_div_fixup_f32 v12, v19, v22, v26
	v_add_f32_e32 v9, v9, v12
	v_div_fixup_f32 v12, v24, v13, v31
	v_mul_f32_e32 v16, v16, v21
	v_add_f32_e32 v9, v12, v9
	v_rcp_f32_e32 v12, v29
	v_div_scale_f32 v18, s[0:1], v6, v22, v6
	v_mul_f32_e32 v4, 4.0, v4
	v_fma_f32 v10, v10, v11, -v16
	v_mul_f32_e32 v4, v4, v10
	v_div_scale_f32 v10, s[2:3], v13, v13, v4
	v_fma_f32 v17, -v29, v12, 1.0
	v_fmac_f32_e32 v12, v17, v12
	v_mul_f32_e32 v11, v14, v12
	v_fma_f32 v16, -v29, v11, v14
	v_fmac_f32_e32 v11, v16, v12
	v_div_scale_f32 v16, s[2:3], v4, v13, v4
	v_rcp_f32_e32 v17, v15
	v_fma_f32 v14, -v29, v11, v14
	v_div_fmas_f32 v11, v14, v12, v11
	s_mov_b64 vcc, s[0:1]
	v_fma_f32 v12, -v15, v17, 1.0
	v_fmac_f32_e32 v17, v12, v17
	v_mul_f32_e32 v12, v18, v17
	v_fma_f32 v14, -v15, v12, v18
	v_fmac_f32_e32 v12, v14, v17
	v_rcp_f32_e32 v14, v10
	v_fma_f32 v15, -v15, v12, v18
	v_div_fmas_f32 v12, v15, v17, v12
	s_mov_b64 vcc, s[2:3]
	v_fma_f32 v15, -v10, v14, 1.0
	v_fmac_f32_e32 v14, v15, v14
	v_mul_f32_e32 v15, v16, v14
	v_fma_f32 v17, -v10, v15, v16
	v_fmac_f32_e32 v15, v17, v14
	v_fma_f32 v10, -v10, v15, v16
	v_div_fmas_f32 v10, v10, v14, v15
	v_mov_b32_dpp v15, v7 row_ror:8 row_mask:0xf bank_mask:0xf bound_ctrl:1
	v_mov_b32_dpp v14, v13 row_ror:8 row_mask:0xf bank_mask:0xf bound_ctrl:1
	v_sub_f32_e32 v7, v7, v15
	v_add_f32_e32 v16, v13, v14
	v_mul_f32_e32 v17, v13, v7
	v_div_scale_f32 v18, s[0:1], v16, v16, v17
	v_mul_f32_e32 v19, v7, v7
	v_div_scale_f32 v20, vcc, v17, v16, v17
	v_mul_f32_e32 v21, v19, v14
	v_mul_f32_e32 v21, v13, v21
	v_div_scale_f32 v23, s[0:1], v16, v16, v21
	v_mov_b32_dpp v30, v1 row_ror:4 row_mask:0xf bank_mask:0xf bound_ctrl:1
	v_add_f32_e32 v1, v1, v30
	v_div_fixup_f32 v11, v11, v25, v27
	v_add_f32_e32 v1, v1, v11
	v_div_fixup_f32 v6, v12, v22, v6
	v_add_f32_e32 v1, v6, v1
	v_div_scale_f32 v6, s[0:1], v21, v16, v21
	v_div_fixup_f32 v4, v10, v13, v4
	v_rcp_f32_e32 v10, v18
	v_mul_f32_e32 v11, v7, v19
	v_add_f32_e32 v1, v4, v1
	v_mul_f32_e32 v4, v16, v16
	v_fma_f32 v12, -v18, v10, 1.0
	v_fmac_f32_e32 v10, v12, v10
	v_mul_f32_e32 v12, v20, v10
	v_fma_f32 v24, -v18, v12, v20
	v_fmac_f32_e32 v12, v24, v10
	v_rcp_f32_e32 v24, v23
	v_fma_f32 v18, -v18, v12, v20
	v_div_fmas_f32 v10, v18, v10, v12
	s_mov_b64 vcc, s[0:1]
	v_fma_f32 v12, -v23, v24, 1.0
	v_fmac_f32_e32 v24, v12, v24
	v_mul_f32_e32 v12, v6, v24
	v_fma_f32 v18, -v23, v12, v6
	v_fmac_f32_e32 v12, v18, v24
	v_fma_f32 v6, -v23, v12, v6
	v_div_fmas_f32 v6, v6, v24, v12
	v_mul_f32_e32 v18, v11, v14
	v_mul_f32_e32 v18, v13, v18
	v_sub_f32_e32 v20, v14, v13
	v_mul_f32_e32 v18, v20, v18
	v_div_scale_f32 v20, s[2:3], v4, v4, v18
	v_mov_b32_dpp v12, v2 row_ror:8 row_mask:0xf bank_mask:0xf bound_ctrl:1
	v_mov_b32_dpp v23, v3 row_ror:8 row_mask:0xf bank_mask:0xf bound_ctrl:1
	v_cmp_lt_f32_e32 vcc, v2, v12
	v_cndmask_b32_e32 v2, v12, v2, vcc
	v_cmp_gt_f32_e32 vcc, v3, v23
	v_mov_b32_dpp v24, v8 row_ror:8 row_mask:0xf bank_mask:0xf bound_ctrl:1
	v_cndmask_b32_e32 v3, v23, v3, vcc
	v_div_fixup_f32 v10, v10, v16, v17
	v_div_scale_f32 v17, vcc, v18, v4, v18
	v_mul_f32_e32 v23, v13, v24
	v_div_fixup_f32 v6, v6, v16, v21
	v_mul_f32_e32 v21, 0x40400000, v7
	v_fma_f32 v23, v8, v14, -v23
	v_mul_f32_e32 v21, v21, v23
	v_div_scale_f32 v23, s[0:1], v16, v16, v21
	v_mul_f32_e32 v11, v7, v11
	v_mul_f32_e32 v29, v14, v14
	v_mul_f32_e32 v11, v11, v14
	v_fma_f32 v30, -v13, v14, v29
	v_rcp_f32_e32 v12, v20
	v_div_scale_f32 v28, s[0:1], v21, v16, v21
	v_mul_f32_e32 v11, v13, v11
	v_fmac_f32_e32 v30, v13, v13
	v_mul_f32_e32 v27, v16, v4
	v_mul_f32_e32 v11, v30, v11
	v_div_scale_f32 v30, s[2:3], v27, v27, v11
	v_add_f32_e32 v10, v10, v15
	v_add_f32_e32 v15, v8, v24
	;; [unrolled: 1-line block ×3, first 2 shown]
	v_fma_f32 v15, -v20, v12, 1.0
	v_fmac_f32_e32 v12, v15, v12
	v_mul_f32_e32 v15, v17, v12
	v_fma_f32 v31, -v20, v15, v17
	v_fmac_f32_e32 v15, v31, v12
	v_div_scale_f32 v31, s[2:3], v11, v27, v11
	v_rcp_f32_e32 v32, v23
	v_fma_f32 v17, -v20, v15, v17
	v_div_fmas_f32 v12, v17, v12, v15
	v_mul_f32_e32 v22, v22, v24
	v_fma_f32 v15, -v23, v32, 1.0
	v_fmac_f32_e32 v32, v15, v32
	v_mul_f32_e32 v15, v28, v32
	v_fma_f32 v17, -v23, v15, v28
	v_fmac_f32_e32 v15, v17, v32
	v_rcp_f32_e32 v17, v30
	v_mul_f32_e32 v19, 0x40c00000, v19
	v_fmac_f32_e32 v22, v29, v8
	v_fma_f32 v20, -v23, v15, v28
	s_mov_b64 vcc, s[0:1]
	v_mul_f32_e32 v8, v19, v22
	v_div_fmas_f32 v15, v20, v32, v15
	v_fma_f32 v20, -v30, v17, 1.0
	v_div_scale_f32 v19, s[0:1], v4, v4, v8
	v_fmac_f32_e32 v17, v20, v17
	v_mul_f32_e32 v20, v31, v17
	v_fma_f32 v23, -v30, v20, v31
	v_mov_b32_dpp v25, v9 row_ror:8 row_mask:0xf bank_mask:0xf bound_ctrl:1
	v_fmac_f32_e32 v20, v23, v17
	v_fma_f32 v23, -v30, v20, v31
	s_mov_b64 vcc, s[2:3]
	v_mul_f32_e32 v13, v13, v25
	v_div_fmas_f32 v17, v23, v17, v20
	v_div_scale_f32 v20, vcc, v8, v4, v8
	v_mul_f32_e32 v7, 4.0, v7
	v_fma_f32 v13, v9, v14, -v13
	v_mul_f32_e32 v7, v7, v13
	v_div_scale_f32 v13, s[0:1], v16, v16, v7
	v_div_scale_f32 v14, s[0:1], v7, v16, v7
	v_add_f32_e32 v9, v9, v25
	v_div_fixup_f32 v12, v12, v4, v18
	v_add_f32_e32 v9, v9, v12
	v_div_fixup_f32 v12, v15, v16, v21
	v_rcp_f32_e32 v15, v19
	v_add_f32_e32 v9, v12, v9
	v_div_fixup_f32 v11, v17, v27, v11
	v_mov_b32_dpp v26, v1 row_ror:8 row_mask:0xf bank_mask:0xf bound_ctrl:1
	v_fma_f32 v12, -v19, v15, 1.0
	v_fmac_f32_e32 v15, v12, v15
	v_mul_f32_e32 v12, v20, v15
	v_fma_f32 v17, -v19, v12, v20
	v_fmac_f32_e32 v12, v17, v15
	v_rcp_f32_e32 v17, v13
	v_fma_f32 v18, -v19, v12, v20
	v_div_fmas_f32 v12, v18, v15, v12
	s_mov_b64 vcc, s[0:1]
	v_fma_f32 v15, -v13, v17, 1.0
	v_fmac_f32_e32 v17, v15, v17
	v_mul_f32_e32 v15, v14, v17
	v_fma_f32 v18, -v13, v15, v14
	v_fmac_f32_e32 v15, v18, v17
	v_fma_f32 v13, -v13, v15, v14
	v_div_fmas_f32 v13, v13, v17, v15
	v_mov_b32_dpp v15, v10 row_bcast:15 row_mask:0xf bank_mask:0xf bound_ctrl:1
	v_mov_b32_dpp v14, v16 row_bcast:15 row_mask:0xf bank_mask:0xf bound_ctrl:1
	v_sub_f32_e32 v10, v10, v15
	v_add_f32_e32 v17, v16, v14
	v_mul_f32_e32 v18, v16, v10
	v_div_scale_f32 v19, s[0:1], v17, v17, v18
	v_add_f32_e32 v1, v1, v26
	v_add_f32_e32 v1, v1, v11
	v_mul_f32_e32 v11, v10, v10
	v_div_fixup_f32 v8, v12, v4, v8
	v_div_scale_f32 v12, vcc, v18, v17, v18
	v_mul_f32_e32 v20, v11, v14
	v_mul_f32_e32 v20, v16, v20
	v_div_scale_f32 v21, s[0:1], v17, v17, v20
	v_add_f32_e32 v1, v8, v1
	v_div_scale_f32 v8, s[0:1], v20, v17, v20
	v_div_fixup_f32 v7, v13, v16, v7
	v_rcp_f32_e32 v13, v19
	v_mul_f32_e32 v24, v10, v11
	v_mul_f32_e32 v23, v17, v17
	v_add_f32_e32 v1, v7, v1
	v_fma_f32 v25, -v19, v13, 1.0
	v_fmac_f32_e32 v13, v25, v13
	v_mul_f32_e32 v25, v12, v13
	v_fma_f32 v26, -v19, v25, v12
	v_fmac_f32_e32 v25, v26, v13
	v_fma_f32 v12, -v19, v25, v12
	v_rcp_f32_e32 v26, v21
	v_div_fmas_f32 v12, v12, v13, v25
	s_mov_b64 vcc, s[0:1]
	v_mov_b32_dpp v7, v2 row_bcast:15 row_mask:0xf bank_mask:0xf bound_ctrl:1
	v_fma_f32 v13, -v21, v26, 1.0
	v_fmac_f32_e32 v26, v13, v26
	v_mul_f32_e32 v13, v8, v26
	v_fma_f32 v19, -v21, v13, v8
	v_fmac_f32_e32 v13, v19, v26
	v_fma_f32 v8, -v21, v13, v8
	v_div_fmas_f32 v8, v8, v26, v13
	v_mul_f32_e32 v13, v24, v14
	v_mul_f32_e32 v13, v16, v13
	v_sub_f32_e32 v19, v14, v16
	v_mul_f32_e32 v13, v19, v13
	v_div_scale_f32 v19, s[0:1], v23, v23, v13
	v_mov_b32_dpp v22, v3 row_bcast:15 row_mask:0xf bank_mask:0xf bound_ctrl:1
	v_cmp_lt_f32_e32 vcc, v2, v7
	v_mov_b32_dpp v21, v6 row_bcast:15 row_mask:0xf bank_mask:0xf bound_ctrl:1
	v_cndmask_b32_e32 v2, v7, v2, vcc
	v_cmp_gt_f32_e32 vcc, v3, v22
	v_cndmask_b32_e32 v3, v22, v3, vcc
	v_mul_f32_e32 v22, v16, v21
	v_div_fixup_f32 v7, v12, v17, v18
	v_div_scale_f32 v18, vcc, v13, v23, v13
	v_div_fixup_f32 v8, v8, v17, v20
	v_mul_f32_e32 v20, 0x40400000, v10
	v_fma_f32 v22, v6, v14, -v22
	v_mul_f32_e32 v20, v20, v22
	v_div_scale_f32 v22, s[0:1], v17, v17, v20
	v_div_scale_f32 v28, s[0:1], v20, v17, v20
	v_mul_f32_e32 v24, v10, v24
	v_add_f32_e32 v7, v7, v15
	v_rcp_f32_e32 v15, v19
	v_mul_f32_e32 v29, v14, v14
	v_mul_f32_e32 v24, v24, v14
	v_fma_f32 v30, -v16, v14, v29
	v_mul_f32_e32 v24, v16, v24
	v_fmac_f32_e32 v30, v16, v16
	v_mul_f32_e32 v27, v17, v23
	v_mul_f32_e32 v24, v30, v24
	v_div_scale_f32 v30, s[2:3], v27, v27, v24
	v_fma_f32 v31, -v19, v15, 1.0
	v_fmac_f32_e32 v15, v31, v15
	v_mul_f32_e32 v31, v18, v15
	v_fma_f32 v32, -v19, v31, v18
	v_fmac_f32_e32 v31, v32, v15
	v_rcp_f32_e32 v32, v22
	v_fma_f32 v18, -v19, v31, v18
	v_div_fmas_f32 v15, v18, v15, v31
	v_mul_f32_e32 v4, v4, v21
	v_fma_f32 v18, -v22, v32, 1.0
	v_fmac_f32_e32 v32, v18, v32
	v_mul_f32_e32 v18, v28, v32
	v_fma_f32 v19, -v22, v18, v28
	v_fmac_f32_e32 v18, v19, v32
	v_fma_f32 v19, -v22, v18, v28
	v_div_scale_f32 v28, s[2:3], v24, v27, v24
	v_mul_f32_e32 v11, 0x40c00000, v11
	v_fmac_f32_e32 v4, v29, v6
	v_mul_f32_e32 v4, v11, v4
	v_add_f32_e32 v12, v6, v21
	v_div_scale_f32 v6, s[8:9], v23, v23, v4
	v_rcp_f32_e32 v22, v30
	s_mov_b64 vcc, s[0:1]
	v_div_fmas_f32 v11, v19, v32, v18
	v_mov_b32_dpp v25, v9 row_bcast:15 row_mask:0xf bank_mask:0xf bound_ctrl:1
	v_fma_f32 v18, -v30, v22, 1.0
	v_fmac_f32_e32 v22, v18, v22
	v_div_scale_f32 v18, s[0:1], v4, v23, v4
	v_mul_f32_e32 v16, v16, v25
	v_add_f32_e32 v8, v12, v8
	v_add_f32_e32 v12, v9, v25
	v_mul_f32_e32 v10, 4.0, v10
	v_fma_f32 v9, v9, v14, -v16
	v_mul_f32_e32 v9, v10, v9
	v_div_scale_f32 v10, s[8:9], v17, v17, v9
	v_mul_f32_e32 v14, v28, v22
	v_fma_f32 v16, -v30, v14, v28
	v_fmac_f32_e32 v14, v16, v22
	v_rcp_f32_e32 v16, v6
	v_div_scale_f32 v19, s[8:9], v9, v17, v9
	v_fma_f32 v21, -v30, v14, v28
	s_mov_b64 vcc, s[2:3]
	v_div_fmas_f32 v14, v21, v22, v14
	v_fma_f32 v21, -v6, v16, 1.0
	v_fmac_f32_e32 v16, v21, v16
	v_mul_f32_e32 v21, v18, v16
	v_fma_f32 v22, -v6, v21, v18
	v_fmac_f32_e32 v21, v22, v16
	v_fma_f32 v6, -v6, v21, v18
	s_mov_b64 vcc, s[0:1]
	v_div_fmas_f32 v6, v6, v16, v21
	v_rcp_f32_e32 v18, v10
	v_div_fixup_f32 v13, v15, v23, v13
	s_mov_b64 vcc, s[8:9]
	v_mov_b32_dpp v26, v1 row_bcast:15 row_mask:0xf bank_mask:0xf bound_ctrl:1
	v_fma_f32 v15, -v10, v18, 1.0
	v_fmac_f32_e32 v18, v15, v18
	v_mul_f32_e32 v15, v19, v18
	v_fma_f32 v16, -v10, v15, v19
	v_fmac_f32_e32 v15, v16, v18
	v_fma_f32 v10, -v10, v15, v19
	v_div_fmas_f32 v10, v10, v18, v15
	v_add_f32_e32 v12, v12, v13
	v_div_fixup_f32 v11, v11, v17, v20
	v_add_f32_e32 v11, v11, v12
	v_add_f32_e32 v1, v1, v26
	v_div_fixup_f32 v12, v14, v27, v24
	v_add_f32_e32 v1, v1, v12
	v_div_fixup_f32 v4, v6, v23, v4
	v_mov_b32_dpp v12, v7 row_bcast:31 row_mask:0xf bank_mask:0xf bound_ctrl:1
	v_mov_b32_dpp v6, v17 row_bcast:31 row_mask:0xf bank_mask:0xf bound_ctrl:1
	v_sub_f32_e32 v7, v7, v12
	v_add_f32_e32 v13, v17, v6
	v_mul_f32_e32 v14, v17, v7
	v_div_scale_f32 v15, s[0:1], v13, v13, v14
	v_add_f32_e32 v1, v4, v1
	v_div_fixup_f32 v4, v10, v17, v9
	v_add_f32_e32 v1, v4, v1
	v_mul_f32_e32 v21, v7, v7
	v_mov_b32_dpp v4, v2 row_bcast:31 row_mask:0xf bank_mask:0xf bound_ctrl:1
	v_cmp_lt_f32_e32 vcc, v2, v4
	v_cndmask_b32_e32 v2, v4, v2, vcc
	v_div_scale_f32 v25, vcc, v14, v13, v14
	v_mul_f32_e32 v26, v21, v6
	v_mul_f32_e32 v26, v17, v26
	v_div_scale_f32 v27, s[0:1], v13, v13, v26
	v_mov_b32_dpp v9, v3 row_bcast:31 row_mask:0xf bank_mask:0xf bound_ctrl:1
	v_rcp_f32_e32 v4, v15
	v_cmp_gt_f32_e64 s[0:1], v3, v9
	v_cndmask_b32_e64 v3, v9, v3, s[0:1]
	v_mul_f32_e32 v22, v7, v21
	v_fma_f32 v9, -v15, v4, 1.0
	v_fmac_f32_e32 v4, v9, v4
	v_div_scale_f32 v9, s[0:1], v26, v13, v26
	v_mul_f32_e32 v24, v7, v22
	v_mul_f32_e32 v22, v22, v6
	;; [unrolled: 1-line block ×3, first 2 shown]
	v_sub_f32_e32 v28, v6, v17
	v_mul_f32_e32 v19, v13, v13
	v_mul_f32_e32 v22, v28, v22
	v_div_scale_f32 v28, s[2:3], v19, v19, v22
	v_mul_f32_e32 v29, v25, v4
	v_fma_f32 v30, -v15, v29, v25
	v_fmac_f32_e32 v29, v30, v4
	v_rcp_f32_e32 v30, v27
	v_fma_f32 v15, -v15, v29, v25
	v_div_fmas_f32 v4, v15, v4, v29
	v_mov_b32_dpp v10, v8 row_bcast:31 row_mask:0xf bank_mask:0xf bound_ctrl:1
	v_fma_f32 v15, -v27, v30, 1.0
	v_fmac_f32_e32 v30, v15, v30
	v_mul_f32_e32 v15, v9, v30
	v_fma_f32 v25, -v27, v15, v9
	v_fmac_f32_e32 v15, v25, v30
	v_fma_f32 v9, -v27, v15, v9
	s_mov_b64 vcc, s[0:1]
	v_mul_f32_e32 v29, v17, v10
	v_div_fmas_f32 v9, v9, v30, v15
	v_div_scale_f32 v25, vcc, v22, v19, v22
	v_mul_f32_e32 v27, 0x40400000, v7
	v_fma_f32 v29, v8, v6, -v29
	v_mul_f32_e32 v27, v27, v29
	v_div_scale_f32 v29, s[0:1], v13, v13, v27
	v_rcp_f32_e32 v15, v28
	v_mul_f32_e32 v31, v6, v6
	v_mul_f32_e32 v24, v24, v6
	v_fma_f32 v32, -v17, v6, v31
	v_fma_f32 v30, -v28, v15, 1.0
	v_fmac_f32_e32 v15, v30, v15
	v_div_scale_f32 v30, s[0:1], v27, v13, v27
	v_mul_f32_e32 v24, v17, v24
	v_mul_f32_e32 v33, v25, v15
	v_fma_f32 v34, -v28, v33, v25
	v_fmac_f32_e32 v33, v34, v15
	v_fmac_f32_e32 v32, v17, v17
	v_mul_f32_e32 v20, v13, v19
	v_rcp_f32_e32 v34, v29
	v_mul_f32_e32 v24, v32, v24
	v_fma_f32 v25, -v28, v33, v25
	v_div_scale_f32 v32, s[2:3], v20, v20, v24
	v_div_fmas_f32 v15, v25, v15, v33
	v_fma_f32 v25, -v29, v34, 1.0
	v_fmac_f32_e32 v34, v25, v34
	v_mul_f32_e32 v25, v30, v34
	v_fma_f32 v28, -v29, v25, v30
	v_fmac_f32_e32 v25, v28, v34
	v_fma_f32 v28, -v29, v25, v30
	s_mov_b64 vcc, s[0:1]
	v_div_fmas_f32 v25, v28, v34, v25
	v_div_scale_f32 v29, vcc, v24, v20, v24
	v_mul_f32_e32 v23, v23, v10
	v_mul_f32_e32 v21, 0x40c00000, v21
	v_fmac_f32_e32 v23, v31, v8
	v_mul_f32_e32 v21, v21, v23
	v_div_scale_f32 v23, s[0:1], v19, v19, v21
	v_mov_b32_dpp v16, v11 row_bcast:31 row_mask:0xf bank_mask:0xf bound_ctrl:1
	v_mul_f32_e32 v17, v17, v16
	v_rcp_f32_e32 v28, v32
	v_div_scale_f32 v31, s[0:1], v21, v19, v21
	v_mul_f32_e32 v7, 4.0, v7
	v_fma_f32 v6, v11, v6, -v17
	v_mul_f32_e32 v6, v7, v6
	v_div_scale_f32 v7, s[2:3], v13, v13, v6
	v_fma_f32 v30, -v32, v28, 1.0
	v_fmac_f32_e32 v28, v30, v28
	v_mul_f32_e32 v17, v29, v28
	v_fma_f32 v30, -v32, v17, v29
	v_fmac_f32_e32 v17, v30, v28
	v_div_scale_f32 v30, s[2:3], v6, v13, v6
	v_rcp_f32_e32 v33, v23
	v_fma_f32 v29, -v32, v17, v29
	v_div_fmas_f32 v17, v29, v28, v17
	s_mov_b64 vcc, s[0:1]
	v_fma_f32 v28, -v23, v33, 1.0
	v_fmac_f32_e32 v33, v28, v33
	v_mul_f32_e32 v28, v31, v33
	v_fma_f32 v29, -v23, v28, v31
	v_fmac_f32_e32 v28, v29, v33
	v_rcp_f32_e32 v29, v7
	v_fma_f32 v23, -v23, v28, v31
	v_div_fmas_f32 v23, v23, v33, v28
	s_mov_b64 vcc, s[2:3]
	v_fma_f32 v28, -v7, v29, 1.0
	v_fmac_f32_e32 v29, v28, v29
	v_mul_f32_e32 v28, v30, v29
	v_fma_f32 v31, -v7, v28, v30
	v_fmac_f32_e32 v28, v31, v29
	v_fma_f32 v7, -v7, v28, v30
	v_div_fmas_f32 v7, v7, v29, v28
	v_add_f32_e32 v8, v8, v10
	v_div_fixup_f32 v9, v9, v13, v26
	v_add_f32_e32 v8, v8, v9
	v_add_f32_e32 v9, v11, v16
	v_div_fixup_f32 v10, v15, v19, v22
	v_mov_b32_dpp v18, v1 row_bcast:31 row_mask:0xf bank_mask:0xf bound_ctrl:1
	v_add_f32_e32 v9, v9, v10
	v_div_fixup_f32 v10, v25, v13, v27
	v_add_f32_e32 v10, v10, v9
	v_add_f32_e32 v1, v1, v18
	v_div_fixup_f32 v9, v17, v20, v24
	v_mbcnt_lo_u32_b32 v5, -1, 0
	v_add_f32_e32 v1, v1, v9
	v_div_fixup_f32 v9, v23, v19, v21
	v_mbcnt_hi_u32_b32 v5, -1, v5
	v_add_f32_e32 v1, v9, v1
	v_div_fixup_f32 v6, v7, v13, v6
	v_div_fixup_f32 v4, v4, v13, v14
	v_add_f32_e32 v7, v6, v1
	v_lshlrev_b32_e32 v6, 2, v5
	v_add_f32_e32 v4, v4, v12
	v_or_b32_e32 v11, 0xfc, v6
	ds_bpermute_b32 v1, v11, v13
	ds_bpermute_b32 v2, v11, v2
	ds_bpermute_b32 v3, v11, v3
	ds_bpermute_b32 v4, v11, v4
	ds_bpermute_b32 v9, v11, v8
	ds_bpermute_b32 v10, v11, v10
	ds_bpermute_b32 v11, v11, v7
	v_cmp_eq_u32_e32 vcc, 0, v5
	s_and_saveexec_b64 s[0:1], vcc
	s_cbranch_execz .LBB13_16
; %bb.15:
	v_lshrrev_b32_e32 v7, 6, v0
	v_mul_u32_u24_e32 v7, 28, v7
	s_waitcnt lgkmcnt(5)
	ds_write2_b32 v7, v1, v2 offset0:56 offset1:57
	s_waitcnt lgkmcnt(4)
	ds_write2_b32 v7, v3, v4 offset0:58 offset1:59
	;; [unrolled: 2-line block ×3, first 2 shown]
	s_waitcnt lgkmcnt(3)
	ds_write_b32 v7, v11 offset:248
.LBB13_16:
	s_or_b64 exec, exec, s[0:1]
	v_cmp_gt_u32_e32 vcc, 64, v0
	s_waitcnt lgkmcnt(0)
	s_barrier
	s_and_saveexec_b64 s[8:9], vcc
	s_cbranch_execz .LBB13_18
; %bb.17:
	v_and_b32_e32 v9, 3, v5
	v_mul_u32_u24_e32 v10, 28, v9
	ds_read2_b32 v[1:2], v10 offset0:56 offset1:57
	ds_read2_b32 v[3:4], v10 offset0:58 offset1:59
	;; [unrolled: 1-line block ×3, first 2 shown]
	ds_read_b32 v10, v10 offset:248
	v_cmp_ne_u32_e32 vcc, 3, v9
	v_addc_co_u32_e32 v5, vcc, 0, v5, vcc
	v_lshlrev_b32_e32 v5, 2, v5
	s_waitcnt lgkmcnt(2)
	ds_bpermute_b32 v11, v5, v4
	ds_bpermute_b32 v9, v5, v1
	;; [unrolled: 1-line block ×4, first 2 shown]
	s_waitcnt lgkmcnt(5)
	ds_bpermute_b32 v18, v5, v7
	s_waitcnt lgkmcnt(4)
	v_sub_f32_e32 v11, v11, v4
	s_waitcnt lgkmcnt(3)
	v_add_f32_e32 v12, v1, v9
	v_mul_f32_e32 v13, v11, v9
	v_div_scale_f32 v14, s[0:1], v12, v12, v13
	v_div_scale_f32 v16, vcc, v13, v12, v13
	v_mul_f32_e32 v21, v11, v11
	v_mul_f32_e32 v24, v1, v21
	;; [unrolled: 1-line block ×3, first 2 shown]
	v_div_scale_f32 v26, s[0:1], v12, v12, v24
	v_mul_f32_e32 v23, v11, v21
	v_mul_f32_e32 v20, v12, v12
	s_waitcnt lgkmcnt(1)
	v_cmp_lt_f32_e64 s[2:3], v3, v17
	v_cndmask_b32_e64 v3, v3, v17, s[2:3]
	v_mul_f32_e32 v17, 0x40400000, v11
	ds_bpermute_b32 v19, v5, v8
	v_mul_f32_e32 v22, v12, v20
	v_rcp_f32_e32 v25, v14
	v_mul_f32_e32 v21, 0x40c00000, v21
	ds_bpermute_b32 v5, v5, v10
	v_fma_f32 v27, -v14, v25, 1.0
	v_fmac_f32_e32 v25, v27, v25
	v_mul_f32_e32 v27, v16, v25
	v_fma_f32 v28, -v14, v27, v16
	v_fmac_f32_e32 v27, v28, v25
	v_fma_f32 v14, -v14, v27, v16
	v_div_fmas_f32 v14, v14, v25, v27
	v_mul_f32_e32 v25, v1, v23
	v_div_scale_f32 v16, vcc, v24, v12, v24
	v_mul_f32_e32 v25, v25, v9
	v_sub_f32_e32 v27, v1, v9
	v_mul_f32_e32 v25, v27, v25
	v_div_scale_f32 v27, s[0:1], v20, v20, v25
	v_cmp_gt_f32_e64 s[0:1], v2, v15
	v_cndmask_b32_e64 v2, v2, v15, s[0:1]
	v_div_scale_f32 v28, s[0:1], v25, v20, v25
	v_rcp_f32_e32 v15, v26
	v_mul_f32_e32 v23, v11, v23
	v_mul_f32_e32 v23, v1, v23
	v_div_fixup_f32 v13, v14, v12, v13
	v_add_f32_e32 v4, v4, v13
	v_fma_f32 v13, -v26, v15, 1.0
	v_fmac_f32_e32 v15, v13, v15
	v_mul_f32_e32 v13, v16, v15
	v_fma_f32 v14, -v26, v13, v16
	v_fmac_f32_e32 v13, v14, v15
	v_rcp_f32_e32 v14, v27
	v_fma_f32 v16, -v26, v13, v16
	v_div_fmas_f32 v13, v16, v15, v13
	v_mul_f32_e32 v26, v7, v9
	v_fma_f32 v15, -v27, v14, 1.0
	v_fmac_f32_e32 v14, v15, v14
	s_waitcnt lgkmcnt(2)
	v_fma_f32 v26, v1, v18, -v26
	v_mul_f32_e32 v15, v28, v14
	v_mul_f32_e32 v17, v17, v26
	v_fma_f32 v16, -v27, v15, v28
	v_div_scale_f32 v26, s[2:3], v12, v12, v17
	v_fmac_f32_e32 v15, v16, v14
	v_fma_f32 v16, -v27, v15, v28
	s_mov_b64 vcc, s[0:1]
	v_div_fmas_f32 v14, v16, v14, v15
	v_div_scale_f32 v16, vcc, v17, v12, v17
	v_add_f32_e32 v15, v7, v18
	v_div_fixup_f32 v13, v13, v12, v24
	v_mul_f32_e32 v27, v1, v1
	v_add_f32_e32 v13, v15, v13
	v_fma_f32 v28, -v1, v9, v27
	v_mul_f32_e32 v23, v23, v9
	v_fmac_f32_e32 v28, v9, v9
	v_mul_f32_e32 v23, v28, v23
	v_rcp_f32_e32 v15, v26
	s_waitcnt lgkmcnt(1)
	v_add_f32_e32 v24, v8, v19
	v_div_scale_f32 v28, s[0:1], v22, v22, v23
	v_mul_f32_e32 v18, v27, v18
	v_div_fixup_f32 v14, v14, v20, v25
	v_add_f32_e32 v14, v24, v14
	v_fma_f32 v24, -v26, v15, 1.0
	v_fmac_f32_e32 v15, v24, v15
	v_mul_f32_e32 v24, v16, v15
	v_fma_f32 v25, -v26, v24, v16
	v_fmac_f32_e32 v24, v25, v15
	v_fma_f32 v16, -v26, v24, v16
	v_div_fmas_f32 v15, v16, v15, v24
	v_div_scale_f32 v25, vcc, v23, v22, v23
	v_mul_f32_e32 v16, v9, v9
	v_fmac_f32_e32 v18, v7, v16
	v_mul_f32_e32 v7, v21, v18
	v_div_scale_f32 v16, s[0:1], v20, v20, v7
	v_mul_f32_e32 v8, v8, v9
	v_rcp_f32_e32 v24, v28
	v_div_scale_f32 v21, s[0:1], v7, v20, v7
	v_mul_f32_e32 v11, 4.0, v11
	v_fma_f32 v1, v1, v19, -v8
	v_mul_f32_e32 v8, v11, v1
	v_div_scale_f32 v1, s[2:3], v12, v12, v8
	v_fma_f32 v18, -v28, v24, 1.0
	v_fmac_f32_e32 v24, v18, v24
	v_mul_f32_e32 v9, v25, v24
	v_fma_f32 v11, -v28, v9, v25
	v_fmac_f32_e32 v9, v11, v24
	v_div_scale_f32 v11, s[2:3], v8, v12, v8
	v_rcp_f32_e32 v18, v16
	v_fma_f32 v19, -v28, v9, v25
	v_div_fmas_f32 v9, v19, v24, v9
	s_mov_b64 vcc, s[0:1]
	v_fma_f32 v19, -v16, v18, 1.0
	v_fmac_f32_e32 v18, v19, v18
	v_mul_f32_e32 v19, v21, v18
	v_fma_f32 v24, -v16, v19, v21
	v_fmac_f32_e32 v19, v24, v18
	v_rcp_f32_e32 v24, v1
	v_fma_f32 v16, -v16, v19, v21
	v_div_fmas_f32 v16, v16, v18, v19
	s_mov_b64 vcc, s[2:3]
	v_fma_f32 v18, -v1, v24, 1.0
	v_fmac_f32_e32 v24, v18, v24
	v_mul_f32_e32 v18, v11, v24
	v_fma_f32 v19, -v1, v18, v11
	v_fmac_f32_e32 v18, v19, v24
	v_fma_f32 v1, -v1, v18, v11
	v_div_fmas_f32 v11, v1, v24, v18
	v_div_fixup_f32 v1, v15, v12, v17
	v_add_f32_e32 v14, v1, v14
	s_waitcnt lgkmcnt(0)
	v_add_f32_e32 v1, v10, v5
	v_or_b32_e32 v5, 8, v6
	ds_bpermute_b32 v10, v5, v4
	ds_bpermute_b32 v6, v5, v12
	v_div_fixup_f32 v9, v9, v22, v23
	v_add_f32_e32 v9, v1, v9
	v_div_fixup_f32 v7, v16, v20, v7
	s_waitcnt lgkmcnt(1)
	v_sub_f32_e32 v10, v10, v4
	s_waitcnt lgkmcnt(0)
	v_add_f32_e32 v1, v12, v6
	v_mul_f32_e32 v15, v10, v6
	v_div_scale_f32 v16, s[0:1], v1, v1, v15
	v_add_f32_e32 v7, v7, v9
	v_div_fixup_f32 v8, v11, v12, v8
	v_add_f32_e32 v7, v8, v7
	ds_bpermute_b32 v8, v5, v2
	v_mul_f32_e32 v21, v10, v10
	v_mul_f32_e32 v25, v12, v21
	ds_bpermute_b32 v9, v5, v3
	v_mul_f32_e32 v25, v25, v6
	s_waitcnt lgkmcnt(1)
	v_cmp_gt_f32_e32 vcc, v2, v8
	v_cndmask_b32_e32 v2, v2, v8, vcc
	v_div_scale_f32 v24, vcc, v15, v1, v15
	v_div_scale_f32 v26, s[0:1], v1, v1, v25
	v_rcp_f32_e32 v8, v16
	s_waitcnt lgkmcnt(0)
	v_cmp_lt_f32_e64 s[0:1], v3, v9
	v_cndmask_b32_e64 v3, v3, v9, s[0:1]
	v_mul_f32_e32 v22, v10, v21
	v_fma_f32 v9, -v16, v8, 1.0
	v_fmac_f32_e32 v8, v9, v8
	v_div_scale_f32 v9, s[0:1], v25, v1, v25
	v_mul_f32_e32 v23, v10, v22
	v_mul_f32_e32 v22, v12, v22
	;; [unrolled: 1-line block ×3, first 2 shown]
	v_sub_f32_e32 v27, v12, v6
	v_mul_f32_e32 v28, v24, v8
	v_fma_f32 v29, -v16, v28, v24
	v_fmac_f32_e32 v28, v29, v8
	v_rcp_f32_e32 v29, v26
	v_mul_f32_e32 v18, v1, v1
	v_mul_f32_e32 v22, v27, v22
	v_div_scale_f32 v27, s[2:3], v18, v18, v22
	ds_bpermute_b32 v11, v5, v13
	v_fma_f32 v16, -v16, v28, v24
	v_div_fmas_f32 v8, v16, v8, v28
	v_fma_f32 v16, -v26, v29, 1.0
	v_fmac_f32_e32 v29, v16, v29
	v_mul_f32_e32 v24, v9, v29
	v_fma_f32 v28, -v26, v24, v9
	v_mul_f32_e32 v30, v13, v6
	v_div_scale_f32 v16, s[2:3], v22, v18, v22
	v_fmac_f32_e32 v24, v28, v29
	v_mul_f32_e32 v28, 0x40400000, v10
	s_waitcnt lgkmcnt(0)
	v_fma_f32 v30, v12, v11, -v30
	v_mul_f32_e32 v28, v28, v30
	v_div_scale_f32 v30, s[10:11], v1, v1, v28
	v_fma_f32 v9, -v26, v24, v9
	s_mov_b64 vcc, s[0:1]
	v_div_fmas_f32 v9, v9, v29, v24
	v_div_scale_f32 v29, s[0:1], v28, v1, v28
	v_rcp_f32_e32 v26, v27
	v_mul_f32_e32 v23, v12, v23
	v_fma_f32 v31, -v12, v6, v20
	v_mul_f32_e32 v23, v23, v6
	v_fma_f32 v24, -v27, v26, 1.0
	v_fmac_f32_e32 v26, v24, v26
	v_mul_f32_e32 v24, v16, v26
	v_fma_f32 v32, -v27, v24, v16
	v_fmac_f32_e32 v24, v32, v26
	v_rcp_f32_e32 v32, v30
	v_fmac_f32_e32 v31, v6, v6
	v_mul_f32_e32 v19, v1, v18
	v_mul_f32_e32 v23, v31, v23
	v_fma_f32 v16, -v27, v24, v16
	s_mov_b64 vcc, s[2:3]
	v_div_scale_f32 v31, s[10:11], v19, v19, v23
	v_div_fmas_f32 v16, v16, v26, v24
	v_fma_f32 v24, -v30, v32, 1.0
	v_fmac_f32_e32 v32, v24, v32
	v_mul_f32_e32 v24, v29, v32
	v_fma_f32 v26, -v30, v24, v29
	v_fmac_f32_e32 v24, v26, v32
	v_fma_f32 v26, -v30, v24, v29
	s_mov_b64 vcc, s[0:1]
	v_div_fmas_f32 v24, v26, v32, v24
	v_div_scale_f32 v29, vcc, v23, v19, v23
	v_mul_f32_e32 v26, v6, v6
	v_mul_f32_e32 v20, v20, v11
	;; [unrolled: 1-line block ×3, first 2 shown]
	v_fmac_f32_e32 v20, v26, v13
	v_mul_f32_e32 v20, v21, v20
	v_div_scale_f32 v21, s[0:1], v18, v18, v20
	ds_bpermute_b32 v17, v5, v14
	v_mul_f32_e32 v6, v14, v6
	v_rcp_f32_e32 v27, v31
	v_div_scale_f32 v30, s[0:1], v20, v18, v20
	v_mul_f32_e32 v10, 4.0, v10
	s_waitcnt lgkmcnt(0)
	v_fma_f32 v6, v12, v17, -v6
	v_mul_f32_e32 v6, v10, v6
	v_div_scale_f32 v10, s[2:3], v1, v1, v6
	v_fma_f32 v26, -v31, v27, 1.0
	v_fmac_f32_e32 v27, v26, v27
	v_mul_f32_e32 v12, v29, v27
	v_fma_f32 v26, -v31, v12, v29
	v_fmac_f32_e32 v12, v26, v27
	v_div_scale_f32 v26, s[2:3], v6, v1, v6
	v_rcp_f32_e32 v32, v21
	v_fma_f32 v29, -v31, v12, v29
	v_div_fmas_f32 v12, v29, v27, v12
	s_mov_b64 vcc, s[0:1]
	v_fma_f32 v27, -v21, v32, 1.0
	v_fmac_f32_e32 v32, v27, v32
	v_mul_f32_e32 v27, v30, v32
	v_fma_f32 v29, -v21, v27, v30
	v_fmac_f32_e32 v27, v29, v32
	v_rcp_f32_e32 v29, v10
	v_fma_f32 v21, -v21, v27, v30
	v_div_fmas_f32 v21, v21, v32, v27
	s_mov_b64 vcc, s[2:3]
	v_fma_f32 v27, -v10, v29, 1.0
	v_fmac_f32_e32 v29, v27, v29
	v_mul_f32_e32 v27, v26, v29
	v_fma_f32 v30, -v10, v27, v26
	v_fmac_f32_e32 v27, v30, v29
	v_fma_f32 v10, -v10, v27, v26
	v_div_fmas_f32 v26, v10, v29, v27
	ds_bpermute_b32 v5, v5, v7
	v_div_fixup_f32 v8, v8, v1, v15
	v_add_f32_e32 v4, v4, v8
	v_add_f32_e32 v8, v13, v11
	v_div_fixup_f32 v9, v9, v1, v25
	s_waitcnt lgkmcnt(0)
	v_add_f32_e32 v5, v7, v5
	v_div_fixup_f32 v7, v12, v19, v23
	v_add_f32_e32 v9, v8, v9
	v_add_f32_e32 v8, v14, v17
	v_div_fixup_f32 v10, v16, v18, v22
	v_add_f32_e32 v5, v5, v7
	v_div_fixup_f32 v7, v21, v18, v20
	;; [unrolled: 2-line block ×4, first 2 shown]
	v_add_f32_e32 v10, v10, v8
	v_add_f32_e32 v11, v6, v5
.LBB13_18:
	s_or_b64 exec, exec, s[8:9]
	s_branch .LBB13_85
.LBB13_19:
                                        ; implicit-def: $vgpr14
                                        ; implicit-def: $vgpr8
	s_branch .LBB13_98
.LBB13_20:
                                        ; implicit-def: $vgpr19
                                        ; implicit-def: $vgpr1
	s_cbranch_execz .LBB13_53
; %bb.21:
	s_sub_i32 s23, s26, s14
	v_cmp_gt_u32_e32 vcc, s23, v0
                                        ; implicit-def: $vgpr19
                                        ; implicit-def: $vgpr4
	s_and_saveexec_b64 s[0:1], vcc
	s_cbranch_execz .LBB13_23
; %bb.22:
	v_mad_u64_u32 v[5:6], s[2:3], v0, 28, s[10:11]
	global_load_dwordx4 v[1:4], v[5:6], off
	global_load_dwordx3 v[17:19], v[5:6], off offset:16
.LBB13_23:
	s_or_b64 exec, exec, s[0:1]
	v_or_b32_e32 v5, 0x100, v0
	v_cmp_gt_u32_e32 vcc, s23, v5
                                        ; implicit-def: $vgpr28
                                        ; implicit-def: $vgpr16
	s_and_saveexec_b64 s[0:1], vcc
	s_cbranch_execz .LBB13_25
; %bb.24:
	v_mad_u64_u32 v[5:6], s[2:3], v5, 28, s[10:11]
	global_load_dwordx4 v[13:16], v[5:6], off
	global_load_dwordx3 v[26:28], v[5:6], off offset:16
.LBB13_25:
	s_or_b64 exec, exec, s[0:1]
	v_or_b32_e32 v5, 0x200, v0
	v_cmp_gt_u32_e64 s[2:3], s23, v5
                                        ; implicit-def: $vgpr25
                                        ; implicit-def: $vgpr12
	s_and_saveexec_b64 s[0:1], s[2:3]
	s_cbranch_execz .LBB13_27
; %bb.26:
	v_mad_u64_u32 v[5:6], s[8:9], v5, 28, s[10:11]
	global_load_dwordx4 v[9:12], v[5:6], off
	global_load_dwordx3 v[23:25], v[5:6], off offset:16
.LBB13_27:
	s_or_b64 exec, exec, s[0:1]
	v_or_b32_e32 v5, 0x300, v0
	v_cmp_gt_u32_e64 s[0:1], s23, v5
                                        ; implicit-def: $vgpr22
                                        ; implicit-def: $vgpr8
	s_and_saveexec_b64 s[8:9], s[0:1]
	s_cbranch_execnz .LBB13_130
; %bb.28:
	s_or_b64 exec, exec, s[8:9]
	s_and_saveexec_b64 s[14:15], vcc
	s_cbranch_execnz .LBB13_131
.LBB13_29:
	s_or_b64 exec, exec, s[14:15]
	s_and_saveexec_b64 s[10:11], s[2:3]
	s_cbranch_execnz .LBB13_132
.LBB13_30:
	s_or_b64 exec, exec, s[10:11]
	s_and_saveexec_b64 s[8:9], s[0:1]
	s_cbranch_execz .LBB13_32
.LBB13_31:
	s_waitcnt vmcnt(1)
	v_sub_f32_e32 v8, v8, v4
	v_add_f32_e32 v9, v5, v1
	v_mul_f32_e32 v10, v5, v8
	v_div_scale_f32 v11, s[0:1], v9, v9, v10
	v_cmp_lt_f32_e64 s[0:1], v6, v2
	v_cndmask_b32_e64 v2, v2, v6, s[0:1]
	v_cmp_lt_f32_e64 s[0:1], v3, v7
	v_cndmask_b32_e64 v3, v3, v7, s[0:1]
	v_mul_f32_e32 v7, v8, v8
	v_div_scale_f32 v12, vcc, v10, v9, v10
	v_mul_f32_e32 v14, v7, v1
	v_mul_f32_e32 v14, v5, v14
	v_div_scale_f32 v16, s[0:1], v9, v9, v14
	s_waitcnt vmcnt(0)
	v_div_scale_f32 v27, s[0:1], v14, v9, v14
	v_mul_f32_e32 v23, v8, v7
	v_rcp_f32_e32 v15, v11
	v_mul_f32_e32 v24, v8, v23
	v_mul_f32_e32 v23, v1, v23
	;; [unrolled: 1-line block ×3, first 2 shown]
	v_fma_f32 v25, -v11, v15, 1.0
	v_fmac_f32_e32 v15, v25, v15
	v_sub_f32_e32 v28, v1, v5
	v_mul_f32_e32 v25, v12, v15
	v_fma_f32 v26, -v11, v25, v12
	v_fmac_f32_e32 v25, v26, v15
	v_mul_f32_e32 v6, v9, v9
	v_rcp_f32_e32 v26, v16
	v_mul_f32_e32 v23, v28, v23
	v_fma_f32 v11, -v11, v25, v12
	v_div_scale_f32 v28, s[2:3], v6, v6, v23
	v_fma_f32 v12, -v16, v26, 1.0
	v_fmac_f32_e32 v26, v12, v26
	v_div_fmas_f32 v11, v11, v15, v25
	v_mul_f32_e32 v15, v27, v26
	v_fma_f32 v25, -v16, v15, v27
	v_fmac_f32_e32 v15, v25, v26
	v_fma_f32 v16, -v16, v15, v27
	s_mov_b64 vcc, s[0:1]
	v_div_fmas_f32 v15, v16, v26, v15
	v_mul_f32_e32 v26, v5, v17
	v_div_scale_f32 v12, s[2:3], v23, v6, v23
	v_mul_f32_e32 v25, 0x40400000, v8
	v_fma_f32 v26, v20, v1, -v26
	v_mul_f32_e32 v25, v25, v26
	v_div_scale_f32 v26, s[0:1], v9, v9, v25
	v_div_scale_f32 v29, s[0:1], v25, v9, v25
	v_rcp_f32_e32 v16, v28
	v_mul_f32_e32 v30, v1, v1
	v_mul_f32_e32 v24, v1, v24
	v_fma_f32 v31, -v5, v1, v30
	v_fma_f32 v27, -v28, v16, 1.0
	v_fmac_f32_e32 v16, v27, v16
	v_mul_f32_e32 v24, v5, v24
	v_mul_f32_e32 v27, v12, v16
	v_fma_f32 v32, -v28, v27, v12
	v_fmac_f32_e32 v27, v32, v16
	v_fmac_f32_e32 v31, v5, v5
	v_mul_f32_e32 v13, v9, v6
	v_rcp_f32_e32 v32, v26
	v_mul_f32_e32 v24, v31, v24
	v_fma_f32 v12, -v28, v27, v12
	s_mov_b64 vcc, s[2:3]
	v_div_scale_f32 v31, s[10:11], v13, v13, v24
	v_div_fmas_f32 v12, v12, v16, v27
	v_fma_f32 v16, -v26, v32, 1.0
	v_fmac_f32_e32 v32, v16, v32
	v_mul_f32_e32 v16, v29, v32
	v_fma_f32 v27, -v26, v16, v29
	v_fmac_f32_e32 v16, v27, v32
	v_fma_f32 v26, -v26, v16, v29
	s_mov_b64 vcc, s[0:1]
	v_div_fmas_f32 v16, v26, v32, v16
	v_div_scale_f32 v28, vcc, v24, v13, v24
	v_mul_f32_e32 v26, v5, v5
	v_mul_f32_e32 v29, v20, v30
	;; [unrolled: 1-line block ×3, first 2 shown]
	v_fmac_f32_e32 v29, v26, v17
	v_mul_f32_e32 v7, v7, v29
	v_div_scale_f32 v26, s[0:1], v6, v6, v7
	v_mul_f32_e32 v5, v5, v18
	v_rcp_f32_e32 v27, v31
	v_div_scale_f32 v30, s[0:1], v7, v6, v7
	v_mul_f32_e32 v8, 4.0, v8
	v_fma_f32 v1, v21, v1, -v5
	v_mul_f32_e32 v1, v8, v1
	v_div_scale_f32 v5, s[2:3], v9, v9, v1
	v_fma_f32 v29, -v31, v27, 1.0
	v_fmac_f32_e32 v27, v29, v27
	v_mul_f32_e32 v8, v28, v27
	v_fma_f32 v29, -v31, v8, v28
	v_fmac_f32_e32 v8, v29, v27
	v_div_scale_f32 v29, s[2:3], v1, v9, v1
	v_rcp_f32_e32 v32, v26
	v_fma_f32 v28, -v31, v8, v28
	v_div_fmas_f32 v8, v28, v27, v8
	s_mov_b64 vcc, s[0:1]
	v_fma_f32 v27, -v26, v32, 1.0
	v_fmac_f32_e32 v32, v27, v32
	v_mul_f32_e32 v27, v30, v32
	v_fma_f32 v28, -v26, v27, v30
	v_fmac_f32_e32 v27, v28, v32
	v_rcp_f32_e32 v28, v5
	v_fma_f32 v26, -v26, v27, v30
	v_div_fmas_f32 v26, v26, v32, v27
	s_mov_b64 vcc, s[2:3]
	v_fma_f32 v27, -v5, v28, 1.0
	v_fmac_f32_e32 v28, v27, v28
	v_mul_f32_e32 v27, v29, v28
	v_fma_f32 v30, -v5, v27, v29
	v_fmac_f32_e32 v27, v30, v28
	v_fma_f32 v5, -v5, v27, v29
	v_div_fmas_f32 v5, v5, v28, v27
	v_div_fixup_f32 v10, v11, v9, v10
	v_add_f32_e32 v4, v4, v10
	v_add_f32_e32 v10, v20, v17
	v_div_fixup_f32 v11, v15, v9, v14
	v_add_f32_e32 v17, v10, v11
	v_add_f32_e32 v11, v21, v18
	v_div_fixup_f32 v12, v12, v6, v23
	v_add_f32_e32 v11, v11, v12
	v_div_fixup_f32 v12, v16, v9, v25
	v_add_f32_e32 v18, v12, v11
	v_add_f32_e32 v12, v22, v19
	v_div_fixup_f32 v8, v8, v13, v24
	v_add_f32_e32 v8, v12, v8
	v_div_fixup_f32 v6, v26, v6, v7
	v_add_f32_e32 v6, v6, v8
	v_div_fixup_f32 v1, v5, v9, v1
	v_add_f32_e32 v19, v1, v6
	v_mov_b32_e32 v1, v9
.LBB13_32:
	s_or_b64 exec, exec, s[8:9]
	s_waitcnt vmcnt(1)
	v_mbcnt_lo_u32_b32 v5, -1, 0
	v_mbcnt_hi_u32_b32 v5, -1, v5
	v_and_b32_e32 v6, 63, v5
	v_cmp_ne_u32_e32 vcc, 63, v6
	v_addc_co_u32_e32 v7, vcc, 0, v5, vcc
	v_lshlrev_b32_e32 v7, 2, v7
	ds_bpermute_b32 v11, v7, v1
	ds_bpermute_b32 v13, v7, v2
	;; [unrolled: 1-line block ×4, first 2 shown]
	s_waitcnt vmcnt(0)
	ds_bpermute_b32 v10, v7, v17
	ds_bpermute_b32 v9, v7, v18
	;; [unrolled: 1-line block ×3, first 2 shown]
	s_min_u32 s10, s23, 0x100
	v_and_b32_e32 v7, 0xc0, v0
	v_sub_u32_e64 v7, s10, v7 clamp
	v_add_u32_e32 v15, 1, v6
	v_cmp_lt_u32_e32 vcc, v15, v7
	s_and_saveexec_b64 s[0:1], vcc
	s_xor_b64 s[8:9], exec, s[0:1]
	s_cbranch_execz .LBB13_34
; %bb.33:
	s_waitcnt lgkmcnt(3)
	v_sub_f32_e32 v14, v14, v4
	v_add_f32_e32 v15, v1, v11
	v_mul_f32_e32 v16, v14, v11
	v_div_scale_f32 v20, s[0:1], v15, v15, v16
	v_cmp_gt_f32_e64 s[0:1], v2, v13
	v_cndmask_b32_e64 v2, v2, v13, s[0:1]
	v_mul_f32_e32 v13, v14, v14
	v_div_scale_f32 v21, vcc, v16, v15, v16
	v_mul_f32_e32 v23, v1, v13
	v_cmp_lt_f32_e64 s[0:1], v3, v12
	v_mul_f32_e32 v23, v23, v11
	v_cndmask_b32_e64 v3, v3, v12, s[0:1]
	v_div_scale_f32 v25, s[0:1], v15, v15, v23
	v_div_scale_f32 v30, s[0:1], v23, v15, v23
	v_mul_f32_e32 v26, v14, v13
	v_rcp_f32_e32 v24, v20
	v_mul_f32_e32 v27, v14, v26
	v_mul_f32_e32 v26, v1, v26
	;; [unrolled: 1-line block ×3, first 2 shown]
	v_fma_f32 v28, -v20, v24, 1.0
	v_fmac_f32_e32 v24, v28, v24
	v_mul_f32_e32 v28, v21, v24
	v_fma_f32 v29, -v20, v28, v21
	v_fmac_f32_e32 v28, v29, v24
	v_sub_f32_e32 v31, v1, v11
	v_mul_f32_e32 v12, v15, v15
	v_rcp_f32_e32 v29, v25
	v_mul_f32_e32 v26, v31, v26
	v_fma_f32 v20, -v20, v28, v21
	v_div_scale_f32 v31, s[2:3], v12, v12, v26
	v_fma_f32 v21, -v25, v29, 1.0
	v_fmac_f32_e32 v29, v21, v29
	v_div_fmas_f32 v20, v20, v24, v28
	v_mul_f32_e32 v24, v30, v29
	v_fma_f32 v28, -v25, v24, v30
	v_fmac_f32_e32 v24, v28, v29
	v_fma_f32 v25, -v25, v24, v30
	s_mov_b64 vcc, s[0:1]
	v_div_fmas_f32 v24, v25, v29, v24
	v_mul_f32_e32 v29, v17, v11
	v_div_scale_f32 v21, s[2:3], v26, v12, v26
	v_mul_f32_e32 v28, 0x40400000, v14
	s_waitcnt lgkmcnt(2)
	v_fma_f32 v29, v1, v10, -v29
	v_mul_f32_e32 v28, v28, v29
	v_div_scale_f32 v29, s[0:1], v15, v15, v28
	v_div_scale_f32 v32, s[0:1], v28, v15, v28
	v_rcp_f32_e32 v25, v31
	v_mul_f32_e32 v33, v1, v1
	v_mul_f32_e32 v27, v1, v27
	v_fma_f32 v34, -v1, v11, v33
	v_fma_f32 v30, -v31, v25, 1.0
	v_fmac_f32_e32 v25, v30, v25
	v_mul_f32_e32 v27, v27, v11
	v_mul_f32_e32 v30, v21, v25
	v_fma_f32 v35, -v31, v30, v21
	v_fmac_f32_e32 v30, v35, v25
	v_fmac_f32_e32 v34, v11, v11
	v_mul_f32_e32 v22, v15, v12
	v_rcp_f32_e32 v35, v29
	v_mul_f32_e32 v27, v34, v27
	v_fma_f32 v21, -v31, v30, v21
	s_mov_b64 vcc, s[2:3]
	v_div_scale_f32 v34, s[14:15], v22, v22, v27
	v_div_fmas_f32 v21, v21, v25, v30
	v_fma_f32 v25, -v29, v35, 1.0
	v_fmac_f32_e32 v35, v25, v35
	v_mul_f32_e32 v25, v32, v35
	v_fma_f32 v30, -v29, v25, v32
	v_fmac_f32_e32 v25, v30, v35
	v_fma_f32 v29, -v29, v25, v32
	s_mov_b64 vcc, s[0:1]
	v_div_fmas_f32 v25, v29, v35, v25
	v_div_scale_f32 v31, vcc, v27, v22, v27
	v_mul_f32_e32 v29, v11, v11
	v_mul_f32_e32 v32, v33, v10
	;; [unrolled: 1-line block ×3, first 2 shown]
	v_fmac_f32_e32 v32, v17, v29
	v_mul_f32_e32 v13, v13, v32
	v_div_scale_f32 v29, s[0:1], v12, v12, v13
	v_mul_f32_e32 v11, v18, v11
	v_rcp_f32_e32 v30, v34
	v_div_scale_f32 v33, s[0:1], v13, v12, v13
	v_mul_f32_e32 v14, 4.0, v14
	s_waitcnt lgkmcnt(1)
	v_fma_f32 v1, v1, v9, -v11
	v_mul_f32_e32 v1, v14, v1
	v_div_scale_f32 v11, s[2:3], v15, v15, v1
	v_fma_f32 v32, -v34, v30, 1.0
	v_fmac_f32_e32 v30, v32, v30
	v_mul_f32_e32 v14, v31, v30
	v_fma_f32 v32, -v34, v14, v31
	v_fmac_f32_e32 v14, v32, v30
	v_div_scale_f32 v32, s[2:3], v1, v15, v1
	v_rcp_f32_e32 v35, v29
	v_fma_f32 v31, -v34, v14, v31
	v_div_fmas_f32 v14, v31, v30, v14
	s_mov_b64 vcc, s[0:1]
	v_fma_f32 v30, -v29, v35, 1.0
	v_fmac_f32_e32 v35, v30, v35
	v_mul_f32_e32 v30, v33, v35
	v_fma_f32 v31, -v29, v30, v33
	v_fmac_f32_e32 v30, v31, v35
	v_rcp_f32_e32 v31, v11
	v_fma_f32 v29, -v29, v30, v33
	v_div_fmas_f32 v29, v29, v35, v30
	s_mov_b64 vcc, s[2:3]
	v_fma_f32 v30, -v11, v31, 1.0
	v_fmac_f32_e32 v31, v30, v31
	v_mul_f32_e32 v30, v32, v31
	v_fma_f32 v33, -v11, v30, v32
	v_fmac_f32_e32 v30, v33, v31
	v_fma_f32 v11, -v11, v30, v32
	v_div_fmas_f32 v11, v11, v31, v30
	v_div_fixup_f32 v16, v20, v15, v16
	v_add_f32_e32 v4, v4, v16
	v_add_f32_e32 v10, v17, v10
	v_div_fixup_f32 v16, v24, v15, v23
	s_waitcnt lgkmcnt(0)
	v_add_f32_e32 v8, v19, v8
	v_div_fixup_f32 v14, v14, v22, v27
	v_add_f32_e32 v17, v10, v16
	v_add_f32_e32 v9, v18, v9
	v_div_fixup_f32 v16, v21, v12, v26
	v_add_f32_e32 v8, v8, v14
	v_div_fixup_f32 v12, v29, v12, v13
	;; [unrolled: 2-line block ×3, first 2 shown]
	v_add_f32_e32 v8, v12, v8
	v_add_f32_e32 v18, v16, v9
	v_div_fixup_f32 v1, v11, v15, v1
	v_add_f32_e32 v19, v1, v8
	v_mov_b32_e32 v1, v15
.LBB13_34:
	s_or_b64 exec, exec, s[8:9]
	v_cmp_gt_u32_e32 vcc, 62, v6
	s_waitcnt lgkmcnt(0)
	v_cndmask_b32_e64 v8, 0, 2, vcc
	v_add_lshl_u32 v8, v8, v5, 2
	ds_bpermute_b32 v11, v8, v1
	ds_bpermute_b32 v13, v8, v2
	;; [unrolled: 1-line block ×7, first 2 shown]
	v_add_u32_e32 v15, 2, v6
	v_cmp_lt_u32_e32 vcc, v15, v7
	s_and_saveexec_b64 s[8:9], vcc
	s_cbranch_execz .LBB13_36
; %bb.35:
	s_waitcnt lgkmcnt(3)
	v_sub_f32_e32 v14, v14, v4
	v_add_f32_e32 v15, v1, v11
	v_mul_f32_e32 v16, v14, v11
	v_div_scale_f32 v20, s[0:1], v15, v15, v16
	v_cmp_gt_f32_e64 s[0:1], v2, v13
	v_cndmask_b32_e64 v2, v2, v13, s[0:1]
	v_mul_f32_e32 v13, v14, v14
	v_div_scale_f32 v21, vcc, v16, v15, v16
	v_mul_f32_e32 v23, v1, v13
	v_cmp_lt_f32_e64 s[0:1], v3, v12
	v_mul_f32_e32 v23, v23, v11
	v_cndmask_b32_e64 v3, v3, v12, s[0:1]
	v_div_scale_f32 v25, s[0:1], v15, v15, v23
	v_div_scale_f32 v30, s[0:1], v23, v15, v23
	v_mul_f32_e32 v26, v14, v13
	v_rcp_f32_e32 v24, v20
	v_mul_f32_e32 v27, v14, v26
	v_mul_f32_e32 v26, v1, v26
	v_mul_f32_e32 v26, v26, v11
	v_fma_f32 v28, -v20, v24, 1.0
	v_fmac_f32_e32 v24, v28, v24
	v_mul_f32_e32 v28, v21, v24
	v_fma_f32 v29, -v20, v28, v21
	v_fmac_f32_e32 v28, v29, v24
	v_sub_f32_e32 v31, v1, v11
	v_mul_f32_e32 v12, v15, v15
	v_rcp_f32_e32 v29, v25
	v_mul_f32_e32 v26, v31, v26
	v_fma_f32 v20, -v20, v28, v21
	v_div_scale_f32 v31, s[2:3], v12, v12, v26
	v_fma_f32 v21, -v25, v29, 1.0
	v_fmac_f32_e32 v29, v21, v29
	v_div_fmas_f32 v20, v20, v24, v28
	v_mul_f32_e32 v24, v30, v29
	v_fma_f32 v28, -v25, v24, v30
	v_fmac_f32_e32 v24, v28, v29
	v_fma_f32 v25, -v25, v24, v30
	s_mov_b64 vcc, s[0:1]
	v_div_fmas_f32 v24, v25, v29, v24
	v_mul_f32_e32 v29, v17, v11
	v_div_scale_f32 v21, s[2:3], v26, v12, v26
	v_mul_f32_e32 v28, 0x40400000, v14
	s_waitcnt lgkmcnt(2)
	v_fma_f32 v29, v1, v10, -v29
	v_mul_f32_e32 v28, v28, v29
	v_div_scale_f32 v29, s[0:1], v15, v15, v28
	v_div_scale_f32 v32, s[0:1], v28, v15, v28
	v_rcp_f32_e32 v25, v31
	v_mul_f32_e32 v33, v1, v1
	v_mul_f32_e32 v27, v1, v27
	v_fma_f32 v34, -v1, v11, v33
	v_fma_f32 v30, -v31, v25, 1.0
	v_fmac_f32_e32 v25, v30, v25
	v_mul_f32_e32 v27, v27, v11
	v_mul_f32_e32 v30, v21, v25
	v_fma_f32 v35, -v31, v30, v21
	v_fmac_f32_e32 v30, v35, v25
	v_fmac_f32_e32 v34, v11, v11
	v_mul_f32_e32 v22, v15, v12
	v_rcp_f32_e32 v35, v29
	v_mul_f32_e32 v27, v34, v27
	v_fma_f32 v21, -v31, v30, v21
	s_mov_b64 vcc, s[2:3]
	v_div_scale_f32 v34, s[14:15], v22, v22, v27
	v_div_fmas_f32 v21, v21, v25, v30
	v_fma_f32 v25, -v29, v35, 1.0
	v_fmac_f32_e32 v35, v25, v35
	v_mul_f32_e32 v25, v32, v35
	v_fma_f32 v30, -v29, v25, v32
	v_fmac_f32_e32 v25, v30, v35
	v_fma_f32 v29, -v29, v25, v32
	s_mov_b64 vcc, s[0:1]
	v_div_fmas_f32 v25, v29, v35, v25
	v_div_scale_f32 v31, vcc, v27, v22, v27
	v_mul_f32_e32 v29, v11, v11
	v_mul_f32_e32 v32, v33, v10
	;; [unrolled: 1-line block ×3, first 2 shown]
	v_fmac_f32_e32 v32, v17, v29
	v_mul_f32_e32 v13, v13, v32
	v_div_scale_f32 v29, s[0:1], v12, v12, v13
	v_mul_f32_e32 v11, v18, v11
	v_rcp_f32_e32 v30, v34
	v_div_scale_f32 v33, s[0:1], v13, v12, v13
	v_mul_f32_e32 v14, 4.0, v14
	s_waitcnt lgkmcnt(1)
	v_fma_f32 v1, v1, v9, -v11
	v_mul_f32_e32 v1, v14, v1
	v_div_scale_f32 v11, s[2:3], v15, v15, v1
	v_fma_f32 v32, -v34, v30, 1.0
	v_fmac_f32_e32 v30, v32, v30
	v_mul_f32_e32 v14, v31, v30
	v_fma_f32 v32, -v34, v14, v31
	v_fmac_f32_e32 v14, v32, v30
	v_div_scale_f32 v32, s[2:3], v1, v15, v1
	v_rcp_f32_e32 v35, v29
	v_fma_f32 v31, -v34, v14, v31
	v_div_fmas_f32 v14, v31, v30, v14
	s_mov_b64 vcc, s[0:1]
	v_fma_f32 v30, -v29, v35, 1.0
	v_fmac_f32_e32 v35, v30, v35
	v_mul_f32_e32 v30, v33, v35
	v_fma_f32 v31, -v29, v30, v33
	v_fmac_f32_e32 v30, v31, v35
	v_rcp_f32_e32 v31, v11
	v_fma_f32 v29, -v29, v30, v33
	v_div_fmas_f32 v29, v29, v35, v30
	s_mov_b64 vcc, s[2:3]
	v_fma_f32 v30, -v11, v31, 1.0
	v_fmac_f32_e32 v31, v30, v31
	v_mul_f32_e32 v30, v32, v31
	v_fma_f32 v33, -v11, v30, v32
	v_fmac_f32_e32 v30, v33, v31
	v_fma_f32 v11, -v11, v30, v32
	v_div_fmas_f32 v11, v11, v31, v30
	v_div_fixup_f32 v16, v20, v15, v16
	v_add_f32_e32 v4, v4, v16
	v_add_f32_e32 v10, v17, v10
	v_div_fixup_f32 v16, v24, v15, v23
	s_waitcnt lgkmcnt(0)
	v_add_f32_e32 v8, v19, v8
	v_div_fixup_f32 v14, v14, v22, v27
	v_add_f32_e32 v17, v10, v16
	v_add_f32_e32 v9, v18, v9
	v_div_fixup_f32 v16, v21, v12, v26
	v_add_f32_e32 v8, v8, v14
	v_div_fixup_f32 v12, v29, v12, v13
	;; [unrolled: 2-line block ×3, first 2 shown]
	v_add_f32_e32 v8, v12, v8
	v_add_f32_e32 v18, v16, v9
	v_div_fixup_f32 v1, v11, v15, v1
	v_add_f32_e32 v19, v1, v8
	v_mov_b32_e32 v1, v15
.LBB13_36:
	s_or_b64 exec, exec, s[8:9]
	v_cmp_gt_u32_e32 vcc, 60, v6
	s_waitcnt lgkmcnt(0)
	v_cndmask_b32_e64 v8, 0, 4, vcc
	v_add_lshl_u32 v8, v8, v5, 2
	ds_bpermute_b32 v11, v8, v1
	ds_bpermute_b32 v13, v8, v2
	;; [unrolled: 1-line block ×7, first 2 shown]
	v_add_u32_e32 v15, 4, v6
	v_cmp_lt_u32_e32 vcc, v15, v7
	s_and_saveexec_b64 s[8:9], vcc
	s_cbranch_execz .LBB13_38
; %bb.37:
	s_waitcnt lgkmcnt(3)
	v_sub_f32_e32 v14, v14, v4
	v_add_f32_e32 v15, v1, v11
	v_mul_f32_e32 v16, v14, v11
	v_div_scale_f32 v20, s[0:1], v15, v15, v16
	v_cmp_gt_f32_e64 s[0:1], v2, v13
	v_cndmask_b32_e64 v2, v2, v13, s[0:1]
	v_mul_f32_e32 v13, v14, v14
	v_div_scale_f32 v21, vcc, v16, v15, v16
	v_mul_f32_e32 v23, v1, v13
	v_cmp_lt_f32_e64 s[0:1], v3, v12
	v_mul_f32_e32 v23, v23, v11
	v_cndmask_b32_e64 v3, v3, v12, s[0:1]
	v_div_scale_f32 v25, s[0:1], v15, v15, v23
	v_div_scale_f32 v30, s[0:1], v23, v15, v23
	v_mul_f32_e32 v26, v14, v13
	v_rcp_f32_e32 v24, v20
	v_mul_f32_e32 v27, v14, v26
	v_mul_f32_e32 v26, v1, v26
	;; [unrolled: 1-line block ×3, first 2 shown]
	v_fma_f32 v28, -v20, v24, 1.0
	v_fmac_f32_e32 v24, v28, v24
	v_mul_f32_e32 v28, v21, v24
	v_fma_f32 v29, -v20, v28, v21
	v_fmac_f32_e32 v28, v29, v24
	v_sub_f32_e32 v31, v1, v11
	v_mul_f32_e32 v12, v15, v15
	v_rcp_f32_e32 v29, v25
	v_mul_f32_e32 v26, v31, v26
	v_fma_f32 v20, -v20, v28, v21
	v_div_scale_f32 v31, s[2:3], v12, v12, v26
	v_fma_f32 v21, -v25, v29, 1.0
	v_fmac_f32_e32 v29, v21, v29
	v_div_fmas_f32 v20, v20, v24, v28
	v_mul_f32_e32 v24, v30, v29
	v_fma_f32 v28, -v25, v24, v30
	v_fmac_f32_e32 v24, v28, v29
	v_fma_f32 v25, -v25, v24, v30
	s_mov_b64 vcc, s[0:1]
	v_div_fmas_f32 v24, v25, v29, v24
	v_mul_f32_e32 v29, v17, v11
	v_div_scale_f32 v21, s[2:3], v26, v12, v26
	v_mul_f32_e32 v28, 0x40400000, v14
	s_waitcnt lgkmcnt(2)
	v_fma_f32 v29, v1, v10, -v29
	v_mul_f32_e32 v28, v28, v29
	v_div_scale_f32 v29, s[0:1], v15, v15, v28
	v_div_scale_f32 v32, s[0:1], v28, v15, v28
	v_rcp_f32_e32 v25, v31
	v_mul_f32_e32 v33, v1, v1
	v_mul_f32_e32 v27, v1, v27
	v_fma_f32 v34, -v1, v11, v33
	v_fma_f32 v30, -v31, v25, 1.0
	v_fmac_f32_e32 v25, v30, v25
	v_mul_f32_e32 v27, v27, v11
	v_mul_f32_e32 v30, v21, v25
	v_fma_f32 v35, -v31, v30, v21
	v_fmac_f32_e32 v30, v35, v25
	v_fmac_f32_e32 v34, v11, v11
	v_mul_f32_e32 v22, v15, v12
	v_rcp_f32_e32 v35, v29
	v_mul_f32_e32 v27, v34, v27
	v_fma_f32 v21, -v31, v30, v21
	s_mov_b64 vcc, s[2:3]
	v_div_scale_f32 v34, s[14:15], v22, v22, v27
	v_div_fmas_f32 v21, v21, v25, v30
	v_fma_f32 v25, -v29, v35, 1.0
	v_fmac_f32_e32 v35, v25, v35
	v_mul_f32_e32 v25, v32, v35
	v_fma_f32 v30, -v29, v25, v32
	v_fmac_f32_e32 v25, v30, v35
	v_fma_f32 v29, -v29, v25, v32
	s_mov_b64 vcc, s[0:1]
	v_div_fmas_f32 v25, v29, v35, v25
	v_div_scale_f32 v31, vcc, v27, v22, v27
	v_mul_f32_e32 v29, v11, v11
	v_mul_f32_e32 v32, v33, v10
	;; [unrolled: 1-line block ×3, first 2 shown]
	v_fmac_f32_e32 v32, v17, v29
	v_mul_f32_e32 v13, v13, v32
	v_div_scale_f32 v29, s[0:1], v12, v12, v13
	v_mul_f32_e32 v11, v18, v11
	v_rcp_f32_e32 v30, v34
	v_div_scale_f32 v33, s[0:1], v13, v12, v13
	v_mul_f32_e32 v14, 4.0, v14
	s_waitcnt lgkmcnt(1)
	v_fma_f32 v1, v1, v9, -v11
	v_mul_f32_e32 v1, v14, v1
	v_div_scale_f32 v11, s[2:3], v15, v15, v1
	v_fma_f32 v32, -v34, v30, 1.0
	v_fmac_f32_e32 v30, v32, v30
	v_mul_f32_e32 v14, v31, v30
	v_fma_f32 v32, -v34, v14, v31
	v_fmac_f32_e32 v14, v32, v30
	v_div_scale_f32 v32, s[2:3], v1, v15, v1
	v_rcp_f32_e32 v35, v29
	v_fma_f32 v31, -v34, v14, v31
	v_div_fmas_f32 v14, v31, v30, v14
	s_mov_b64 vcc, s[0:1]
	v_fma_f32 v30, -v29, v35, 1.0
	v_fmac_f32_e32 v35, v30, v35
	v_mul_f32_e32 v30, v33, v35
	v_fma_f32 v31, -v29, v30, v33
	v_fmac_f32_e32 v30, v31, v35
	v_rcp_f32_e32 v31, v11
	v_fma_f32 v29, -v29, v30, v33
	v_div_fmas_f32 v29, v29, v35, v30
	s_mov_b64 vcc, s[2:3]
	v_fma_f32 v30, -v11, v31, 1.0
	v_fmac_f32_e32 v31, v30, v31
	v_mul_f32_e32 v30, v32, v31
	v_fma_f32 v33, -v11, v30, v32
	v_fmac_f32_e32 v30, v33, v31
	v_fma_f32 v11, -v11, v30, v32
	v_div_fmas_f32 v11, v11, v31, v30
	v_div_fixup_f32 v16, v20, v15, v16
	v_add_f32_e32 v4, v4, v16
	v_add_f32_e32 v10, v17, v10
	v_div_fixup_f32 v16, v24, v15, v23
	s_waitcnt lgkmcnt(0)
	v_add_f32_e32 v8, v19, v8
	v_div_fixup_f32 v14, v14, v22, v27
	v_add_f32_e32 v17, v10, v16
	v_add_f32_e32 v9, v18, v9
	v_div_fixup_f32 v16, v21, v12, v26
	v_add_f32_e32 v8, v8, v14
	v_div_fixup_f32 v12, v29, v12, v13
	;; [unrolled: 2-line block ×3, first 2 shown]
	v_add_f32_e32 v8, v12, v8
	v_add_f32_e32 v18, v16, v9
	v_div_fixup_f32 v1, v11, v15, v1
	v_add_f32_e32 v19, v1, v8
	v_mov_b32_e32 v1, v15
.LBB13_38:
	s_or_b64 exec, exec, s[8:9]
	v_cmp_gt_u32_e32 vcc, 56, v6
	s_waitcnt lgkmcnt(0)
	v_cndmask_b32_e64 v8, 0, 8, vcc
	v_add_lshl_u32 v8, v8, v5, 2
	ds_bpermute_b32 v11, v8, v1
	ds_bpermute_b32 v13, v8, v2
	;; [unrolled: 1-line block ×7, first 2 shown]
	v_add_u32_e32 v15, 8, v6
	v_cmp_lt_u32_e32 vcc, v15, v7
	s_and_saveexec_b64 s[8:9], vcc
	s_cbranch_execz .LBB13_40
; %bb.39:
	s_waitcnt lgkmcnt(3)
	v_sub_f32_e32 v14, v14, v4
	v_add_f32_e32 v15, v1, v11
	v_mul_f32_e32 v16, v14, v11
	v_div_scale_f32 v20, s[0:1], v15, v15, v16
	v_cmp_gt_f32_e64 s[0:1], v2, v13
	v_cndmask_b32_e64 v2, v2, v13, s[0:1]
	v_mul_f32_e32 v13, v14, v14
	v_div_scale_f32 v21, vcc, v16, v15, v16
	v_mul_f32_e32 v23, v1, v13
	v_cmp_lt_f32_e64 s[0:1], v3, v12
	v_mul_f32_e32 v23, v23, v11
	v_cndmask_b32_e64 v3, v3, v12, s[0:1]
	v_div_scale_f32 v25, s[0:1], v15, v15, v23
	v_div_scale_f32 v30, s[0:1], v23, v15, v23
	v_mul_f32_e32 v26, v14, v13
	v_rcp_f32_e32 v24, v20
	v_mul_f32_e32 v27, v14, v26
	v_mul_f32_e32 v26, v1, v26
	v_mul_f32_e32 v26, v26, v11
	v_fma_f32 v28, -v20, v24, 1.0
	v_fmac_f32_e32 v24, v28, v24
	v_mul_f32_e32 v28, v21, v24
	v_fma_f32 v29, -v20, v28, v21
	v_fmac_f32_e32 v28, v29, v24
	v_sub_f32_e32 v31, v1, v11
	v_mul_f32_e32 v12, v15, v15
	v_rcp_f32_e32 v29, v25
	v_mul_f32_e32 v26, v31, v26
	v_fma_f32 v20, -v20, v28, v21
	v_div_scale_f32 v31, s[2:3], v12, v12, v26
	v_fma_f32 v21, -v25, v29, 1.0
	v_fmac_f32_e32 v29, v21, v29
	v_div_fmas_f32 v20, v20, v24, v28
	v_mul_f32_e32 v24, v30, v29
	v_fma_f32 v28, -v25, v24, v30
	v_fmac_f32_e32 v24, v28, v29
	v_fma_f32 v25, -v25, v24, v30
	s_mov_b64 vcc, s[0:1]
	v_div_fmas_f32 v24, v25, v29, v24
	v_mul_f32_e32 v29, v17, v11
	v_div_scale_f32 v21, s[2:3], v26, v12, v26
	v_mul_f32_e32 v28, 0x40400000, v14
	s_waitcnt lgkmcnt(2)
	v_fma_f32 v29, v1, v10, -v29
	v_mul_f32_e32 v28, v28, v29
	v_div_scale_f32 v29, s[0:1], v15, v15, v28
	v_div_scale_f32 v32, s[0:1], v28, v15, v28
	v_rcp_f32_e32 v25, v31
	v_mul_f32_e32 v33, v1, v1
	v_mul_f32_e32 v27, v1, v27
	v_fma_f32 v34, -v1, v11, v33
	v_fma_f32 v30, -v31, v25, 1.0
	v_fmac_f32_e32 v25, v30, v25
	v_mul_f32_e32 v27, v27, v11
	v_mul_f32_e32 v30, v21, v25
	v_fma_f32 v35, -v31, v30, v21
	v_fmac_f32_e32 v30, v35, v25
	v_fmac_f32_e32 v34, v11, v11
	v_mul_f32_e32 v22, v15, v12
	v_rcp_f32_e32 v35, v29
	v_mul_f32_e32 v27, v34, v27
	v_fma_f32 v21, -v31, v30, v21
	s_mov_b64 vcc, s[2:3]
	v_div_scale_f32 v34, s[14:15], v22, v22, v27
	v_div_fmas_f32 v21, v21, v25, v30
	v_fma_f32 v25, -v29, v35, 1.0
	v_fmac_f32_e32 v35, v25, v35
	v_mul_f32_e32 v25, v32, v35
	v_fma_f32 v30, -v29, v25, v32
	v_fmac_f32_e32 v25, v30, v35
	v_fma_f32 v29, -v29, v25, v32
	s_mov_b64 vcc, s[0:1]
	v_div_fmas_f32 v25, v29, v35, v25
	v_div_scale_f32 v31, vcc, v27, v22, v27
	v_mul_f32_e32 v29, v11, v11
	v_mul_f32_e32 v32, v33, v10
	;; [unrolled: 1-line block ×3, first 2 shown]
	v_fmac_f32_e32 v32, v17, v29
	v_mul_f32_e32 v13, v13, v32
	v_div_scale_f32 v29, s[0:1], v12, v12, v13
	v_mul_f32_e32 v11, v18, v11
	v_rcp_f32_e32 v30, v34
	v_div_scale_f32 v33, s[0:1], v13, v12, v13
	v_mul_f32_e32 v14, 4.0, v14
	s_waitcnt lgkmcnt(1)
	v_fma_f32 v1, v1, v9, -v11
	v_mul_f32_e32 v1, v14, v1
	v_div_scale_f32 v11, s[2:3], v15, v15, v1
	v_fma_f32 v32, -v34, v30, 1.0
	v_fmac_f32_e32 v30, v32, v30
	v_mul_f32_e32 v14, v31, v30
	v_fma_f32 v32, -v34, v14, v31
	v_fmac_f32_e32 v14, v32, v30
	v_div_scale_f32 v32, s[2:3], v1, v15, v1
	v_rcp_f32_e32 v35, v29
	v_fma_f32 v31, -v34, v14, v31
	v_div_fmas_f32 v14, v31, v30, v14
	s_mov_b64 vcc, s[0:1]
	v_fma_f32 v30, -v29, v35, 1.0
	v_fmac_f32_e32 v35, v30, v35
	v_mul_f32_e32 v30, v33, v35
	v_fma_f32 v31, -v29, v30, v33
	v_fmac_f32_e32 v30, v31, v35
	v_rcp_f32_e32 v31, v11
	v_fma_f32 v29, -v29, v30, v33
	v_div_fmas_f32 v29, v29, v35, v30
	s_mov_b64 vcc, s[2:3]
	v_fma_f32 v30, -v11, v31, 1.0
	v_fmac_f32_e32 v31, v30, v31
	v_mul_f32_e32 v30, v32, v31
	v_fma_f32 v33, -v11, v30, v32
	v_fmac_f32_e32 v30, v33, v31
	v_fma_f32 v11, -v11, v30, v32
	v_div_fmas_f32 v11, v11, v31, v30
	v_div_fixup_f32 v16, v20, v15, v16
	v_add_f32_e32 v4, v4, v16
	v_add_f32_e32 v10, v17, v10
	v_div_fixup_f32 v16, v24, v15, v23
	s_waitcnt lgkmcnt(0)
	v_add_f32_e32 v8, v19, v8
	v_div_fixup_f32 v14, v14, v22, v27
	v_add_f32_e32 v17, v10, v16
	v_add_f32_e32 v9, v18, v9
	v_div_fixup_f32 v16, v21, v12, v26
	v_add_f32_e32 v8, v8, v14
	v_div_fixup_f32 v12, v29, v12, v13
	;; [unrolled: 2-line block ×3, first 2 shown]
	v_add_f32_e32 v8, v12, v8
	v_add_f32_e32 v18, v16, v9
	v_div_fixup_f32 v1, v11, v15, v1
	v_add_f32_e32 v19, v1, v8
	v_mov_b32_e32 v1, v15
.LBB13_40:
	s_or_b64 exec, exec, s[8:9]
	v_cmp_gt_u32_e32 vcc, 48, v6
	s_waitcnt lgkmcnt(0)
	v_cndmask_b32_e64 v8, 0, 16, vcc
	v_add_lshl_u32 v8, v8, v5, 2
	ds_bpermute_b32 v11, v8, v1
	ds_bpermute_b32 v13, v8, v2
	ds_bpermute_b32 v12, v8, v3
	ds_bpermute_b32 v14, v8, v4
	ds_bpermute_b32 v10, v8, v17
	ds_bpermute_b32 v9, v8, v18
	ds_bpermute_b32 v8, v8, v19
	v_add_u32_e32 v15, 16, v6
	v_cmp_lt_u32_e32 vcc, v15, v7
	s_and_saveexec_b64 s[8:9], vcc
	s_cbranch_execz .LBB13_42
; %bb.41:
	s_waitcnt lgkmcnt(3)
	v_sub_f32_e32 v14, v14, v4
	v_add_f32_e32 v15, v1, v11
	v_mul_f32_e32 v16, v14, v11
	v_div_scale_f32 v20, s[0:1], v15, v15, v16
	v_cmp_gt_f32_e64 s[0:1], v2, v13
	v_cndmask_b32_e64 v2, v2, v13, s[0:1]
	v_mul_f32_e32 v13, v14, v14
	v_div_scale_f32 v21, vcc, v16, v15, v16
	v_mul_f32_e32 v23, v1, v13
	v_cmp_lt_f32_e64 s[0:1], v3, v12
	v_mul_f32_e32 v23, v23, v11
	v_cndmask_b32_e64 v3, v3, v12, s[0:1]
	v_div_scale_f32 v25, s[0:1], v15, v15, v23
	v_div_scale_f32 v30, s[0:1], v23, v15, v23
	v_mul_f32_e32 v26, v14, v13
	v_rcp_f32_e32 v24, v20
	v_mul_f32_e32 v27, v14, v26
	v_mul_f32_e32 v26, v1, v26
	;; [unrolled: 1-line block ×3, first 2 shown]
	v_fma_f32 v28, -v20, v24, 1.0
	v_fmac_f32_e32 v24, v28, v24
	v_mul_f32_e32 v28, v21, v24
	v_fma_f32 v29, -v20, v28, v21
	v_fmac_f32_e32 v28, v29, v24
	v_sub_f32_e32 v31, v1, v11
	v_mul_f32_e32 v12, v15, v15
	v_rcp_f32_e32 v29, v25
	v_mul_f32_e32 v26, v31, v26
	v_fma_f32 v20, -v20, v28, v21
	v_div_scale_f32 v31, s[2:3], v12, v12, v26
	v_fma_f32 v21, -v25, v29, 1.0
	v_fmac_f32_e32 v29, v21, v29
	v_div_fmas_f32 v20, v20, v24, v28
	v_mul_f32_e32 v24, v30, v29
	v_fma_f32 v28, -v25, v24, v30
	v_fmac_f32_e32 v24, v28, v29
	v_fma_f32 v25, -v25, v24, v30
	s_mov_b64 vcc, s[0:1]
	v_div_fmas_f32 v24, v25, v29, v24
	v_mul_f32_e32 v29, v17, v11
	v_div_scale_f32 v21, s[2:3], v26, v12, v26
	v_mul_f32_e32 v28, 0x40400000, v14
	s_waitcnt lgkmcnt(2)
	v_fma_f32 v29, v1, v10, -v29
	v_mul_f32_e32 v28, v28, v29
	v_div_scale_f32 v29, s[0:1], v15, v15, v28
	v_div_scale_f32 v32, s[0:1], v28, v15, v28
	v_rcp_f32_e32 v25, v31
	v_mul_f32_e32 v33, v1, v1
	v_mul_f32_e32 v27, v1, v27
	v_fma_f32 v34, -v1, v11, v33
	v_fma_f32 v30, -v31, v25, 1.0
	v_fmac_f32_e32 v25, v30, v25
	v_mul_f32_e32 v27, v27, v11
	v_mul_f32_e32 v30, v21, v25
	v_fma_f32 v35, -v31, v30, v21
	v_fmac_f32_e32 v30, v35, v25
	v_fmac_f32_e32 v34, v11, v11
	v_mul_f32_e32 v22, v15, v12
	v_rcp_f32_e32 v35, v29
	v_mul_f32_e32 v27, v34, v27
	v_fma_f32 v21, -v31, v30, v21
	s_mov_b64 vcc, s[2:3]
	v_div_scale_f32 v34, s[14:15], v22, v22, v27
	v_div_fmas_f32 v21, v21, v25, v30
	v_fma_f32 v25, -v29, v35, 1.0
	v_fmac_f32_e32 v35, v25, v35
	v_mul_f32_e32 v25, v32, v35
	v_fma_f32 v30, -v29, v25, v32
	v_fmac_f32_e32 v25, v30, v35
	v_fma_f32 v29, -v29, v25, v32
	s_mov_b64 vcc, s[0:1]
	v_div_fmas_f32 v25, v29, v35, v25
	v_div_scale_f32 v31, vcc, v27, v22, v27
	v_mul_f32_e32 v29, v11, v11
	v_mul_f32_e32 v32, v33, v10
	;; [unrolled: 1-line block ×3, first 2 shown]
	v_fmac_f32_e32 v32, v17, v29
	v_mul_f32_e32 v13, v13, v32
	v_div_scale_f32 v29, s[0:1], v12, v12, v13
	v_mul_f32_e32 v11, v18, v11
	v_rcp_f32_e32 v30, v34
	v_div_scale_f32 v33, s[0:1], v13, v12, v13
	v_mul_f32_e32 v14, 4.0, v14
	s_waitcnt lgkmcnt(1)
	v_fma_f32 v1, v1, v9, -v11
	v_mul_f32_e32 v1, v14, v1
	v_div_scale_f32 v11, s[2:3], v15, v15, v1
	v_fma_f32 v32, -v34, v30, 1.0
	v_fmac_f32_e32 v30, v32, v30
	v_mul_f32_e32 v14, v31, v30
	v_fma_f32 v32, -v34, v14, v31
	v_fmac_f32_e32 v14, v32, v30
	v_div_scale_f32 v32, s[2:3], v1, v15, v1
	v_rcp_f32_e32 v35, v29
	v_fma_f32 v31, -v34, v14, v31
	v_div_fmas_f32 v14, v31, v30, v14
	s_mov_b64 vcc, s[0:1]
	v_fma_f32 v30, -v29, v35, 1.0
	v_fmac_f32_e32 v35, v30, v35
	v_mul_f32_e32 v30, v33, v35
	v_fma_f32 v31, -v29, v30, v33
	v_fmac_f32_e32 v30, v31, v35
	v_rcp_f32_e32 v31, v11
	v_fma_f32 v29, -v29, v30, v33
	v_div_fmas_f32 v29, v29, v35, v30
	s_mov_b64 vcc, s[2:3]
	v_fma_f32 v30, -v11, v31, 1.0
	v_fmac_f32_e32 v31, v30, v31
	v_mul_f32_e32 v30, v32, v31
	v_fma_f32 v33, -v11, v30, v32
	v_fmac_f32_e32 v30, v33, v31
	v_fma_f32 v11, -v11, v30, v32
	v_div_fmas_f32 v11, v11, v31, v30
	v_div_fixup_f32 v16, v20, v15, v16
	v_add_f32_e32 v4, v4, v16
	v_add_f32_e32 v10, v17, v10
	v_div_fixup_f32 v16, v24, v15, v23
	s_waitcnt lgkmcnt(0)
	v_add_f32_e32 v8, v19, v8
	v_div_fixup_f32 v14, v14, v22, v27
	v_add_f32_e32 v17, v10, v16
	v_add_f32_e32 v9, v18, v9
	v_div_fixup_f32 v16, v21, v12, v26
	v_add_f32_e32 v8, v8, v14
	v_div_fixup_f32 v12, v29, v12, v13
	v_add_f32_e32 v9, v9, v16
	v_div_fixup_f32 v16, v25, v15, v28
	v_add_f32_e32 v8, v12, v8
	v_add_f32_e32 v18, v16, v9
	v_div_fixup_f32 v1, v11, v15, v1
	v_add_f32_e32 v19, v1, v8
	v_mov_b32_e32 v1, v15
.LBB13_42:
	s_or_b64 exec, exec, s[8:9]
	s_waitcnt lgkmcnt(0)
	v_lshlrev_b32_e32 v8, 2, v5
	v_or_b32_e32 v9, 0x80, v8
	ds_bpermute_b32 v12, v9, v1
	ds_bpermute_b32 v14, v9, v2
	;; [unrolled: 1-line block ×7, first 2 shown]
	v_add_u32_e32 v6, 32, v6
	v_cmp_lt_u32_e32 vcc, v6, v7
	s_and_saveexec_b64 s[8:9], vcc
	s_cbranch_execz .LBB13_44
; %bb.43:
	s_waitcnt lgkmcnt(3)
	v_sub_f32_e32 v7, v15, v4
	v_add_f32_e32 v6, v1, v12
	v_mul_f32_e32 v15, v7, v12
	v_div_scale_f32 v16, s[0:1], v6, v6, v15
	v_cmp_gt_f32_e64 s[0:1], v2, v14
	v_cndmask_b32_e64 v2, v2, v14, s[0:1]
	v_mul_f32_e32 v14, v7, v7
	v_div_scale_f32 v20, vcc, v15, v6, v15
	v_mul_f32_e32 v22, v1, v14
	v_cmp_lt_f32_e64 s[0:1], v3, v13
	v_mul_f32_e32 v22, v22, v12
	v_cndmask_b32_e64 v3, v3, v13, s[0:1]
	v_div_scale_f32 v24, s[0:1], v6, v6, v22
	v_div_scale_f32 v29, s[0:1], v22, v6, v22
	v_mul_f32_e32 v25, v7, v14
	v_rcp_f32_e32 v23, v16
	v_mul_f32_e32 v26, v7, v25
	v_mul_f32_e32 v25, v1, v25
	;; [unrolled: 1-line block ×3, first 2 shown]
	v_fma_f32 v27, -v16, v23, 1.0
	v_fmac_f32_e32 v23, v27, v23
	v_mul_f32_e32 v27, v20, v23
	v_fma_f32 v28, -v16, v27, v20
	v_fmac_f32_e32 v27, v28, v23
	v_sub_f32_e32 v30, v1, v12
	v_mul_f32_e32 v13, v6, v6
	v_rcp_f32_e32 v28, v24
	v_mul_f32_e32 v25, v30, v25
	v_fma_f32 v16, -v16, v27, v20
	v_div_scale_f32 v30, s[2:3], v13, v13, v25
	v_fma_f32 v20, -v24, v28, 1.0
	v_fmac_f32_e32 v28, v20, v28
	v_div_fmas_f32 v16, v16, v23, v27
	v_mul_f32_e32 v23, v29, v28
	v_fma_f32 v27, -v24, v23, v29
	v_fmac_f32_e32 v23, v27, v28
	v_fma_f32 v24, -v24, v23, v29
	s_mov_b64 vcc, s[0:1]
	v_div_fmas_f32 v23, v24, v28, v23
	v_mul_f32_e32 v28, v17, v12
	v_div_scale_f32 v20, s[2:3], v25, v13, v25
	v_mul_f32_e32 v27, 0x40400000, v7
	s_waitcnt lgkmcnt(2)
	v_fma_f32 v28, v1, v11, -v28
	v_mul_f32_e32 v27, v27, v28
	v_div_scale_f32 v28, s[0:1], v6, v6, v27
	v_div_scale_f32 v31, s[0:1], v27, v6, v27
	v_rcp_f32_e32 v24, v30
	v_mul_f32_e32 v32, v1, v1
	v_mul_f32_e32 v26, v1, v26
	v_fma_f32 v33, -v1, v12, v32
	v_fma_f32 v29, -v30, v24, 1.0
	v_fmac_f32_e32 v24, v29, v24
	v_mul_f32_e32 v26, v26, v12
	v_mul_f32_e32 v29, v20, v24
	v_fma_f32 v34, -v30, v29, v20
	v_fmac_f32_e32 v29, v34, v24
	v_fmac_f32_e32 v33, v12, v12
	v_mul_f32_e32 v21, v6, v13
	v_rcp_f32_e32 v34, v28
	v_mul_f32_e32 v26, v33, v26
	v_fma_f32 v20, -v30, v29, v20
	s_mov_b64 vcc, s[2:3]
	v_div_scale_f32 v33, s[14:15], v21, v21, v26
	v_div_fmas_f32 v20, v20, v24, v29
	v_fma_f32 v24, -v28, v34, 1.0
	v_fmac_f32_e32 v34, v24, v34
	v_mul_f32_e32 v24, v31, v34
	v_fma_f32 v29, -v28, v24, v31
	v_fmac_f32_e32 v24, v29, v34
	v_fma_f32 v28, -v28, v24, v31
	s_mov_b64 vcc, s[0:1]
	v_div_fmas_f32 v24, v28, v34, v24
	v_div_scale_f32 v30, vcc, v26, v21, v26
	v_mul_f32_e32 v28, v12, v12
	v_mul_f32_e32 v31, v32, v11
	;; [unrolled: 1-line block ×3, first 2 shown]
	v_fmac_f32_e32 v31, v17, v28
	v_mul_f32_e32 v14, v14, v31
	v_div_scale_f32 v28, s[0:1], v13, v13, v14
	v_mul_f32_e32 v12, v18, v12
	v_rcp_f32_e32 v29, v33
	v_div_scale_f32 v32, s[0:1], v14, v13, v14
	v_mul_f32_e32 v7, 4.0, v7
	s_waitcnt lgkmcnt(1)
	v_fma_f32 v1, v1, v10, -v12
	v_mul_f32_e32 v1, v7, v1
	v_div_scale_f32 v7, s[2:3], v6, v6, v1
	v_fma_f32 v31, -v33, v29, 1.0
	v_fmac_f32_e32 v29, v31, v29
	v_mul_f32_e32 v12, v30, v29
	v_fma_f32 v31, -v33, v12, v30
	v_fmac_f32_e32 v12, v31, v29
	v_div_scale_f32 v31, s[2:3], v1, v6, v1
	v_rcp_f32_e32 v34, v28
	v_fma_f32 v30, -v33, v12, v30
	v_div_fmas_f32 v12, v30, v29, v12
	s_mov_b64 vcc, s[0:1]
	v_fma_f32 v29, -v28, v34, 1.0
	v_fmac_f32_e32 v34, v29, v34
	v_mul_f32_e32 v29, v32, v34
	v_fma_f32 v30, -v28, v29, v32
	v_fmac_f32_e32 v29, v30, v34
	v_rcp_f32_e32 v30, v7
	v_fma_f32 v28, -v28, v29, v32
	v_div_fmas_f32 v28, v28, v34, v29
	s_mov_b64 vcc, s[2:3]
	v_fma_f32 v29, -v7, v30, 1.0
	v_fmac_f32_e32 v30, v29, v30
	v_mul_f32_e32 v29, v31, v30
	v_fma_f32 v32, -v7, v29, v31
	v_fmac_f32_e32 v29, v32, v30
	v_fma_f32 v7, -v7, v29, v31
	v_div_fmas_f32 v7, v7, v30, v29
	v_div_fixup_f32 v15, v16, v6, v15
	v_add_f32_e32 v4, v4, v15
	v_add_f32_e32 v11, v17, v11
	v_div_fixup_f32 v15, v23, v6, v22
	s_waitcnt lgkmcnt(0)
	v_add_f32_e32 v9, v19, v9
	v_div_fixup_f32 v12, v12, v21, v26
	v_add_f32_e32 v17, v11, v15
	v_add_f32_e32 v10, v18, v10
	v_div_fixup_f32 v15, v20, v13, v25
	v_add_f32_e32 v9, v9, v12
	v_div_fixup_f32 v12, v28, v13, v14
	;; [unrolled: 2-line block ×3, first 2 shown]
	v_add_f32_e32 v9, v12, v9
	v_add_f32_e32 v18, v15, v10
	v_div_fixup_f32 v1, v7, v6, v1
	v_add_f32_e32 v19, v1, v9
	v_mov_b32_e32 v1, v6
.LBB13_44:
	s_or_b64 exec, exec, s[8:9]
	v_cmp_eq_u32_e32 vcc, 0, v5
	s_and_saveexec_b64 s[0:1], vcc
	s_cbranch_execz .LBB13_46
; %bb.45:
	v_lshrrev_b32_e32 v6, 6, v0
	v_mul_u32_u24_e32 v6, 28, v6
	ds_write2_b32 v6, v1, v2 offset1:1
	ds_write2_b32 v6, v3, v4 offset0:2 offset1:3
	ds_write2_b32 v6, v17, v18 offset0:4 offset1:5
	ds_write_b32 v6, v19 offset:24
.LBB13_46:
	s_or_b64 exec, exec, s[0:1]
	v_cmp_gt_u32_e32 vcc, 4, v0
	s_waitcnt lgkmcnt(0)
	s_barrier
	s_and_saveexec_b64 s[8:9], vcc
	s_cbranch_execz .LBB13_52
; %bb.47:
	v_mul_u32_u24_e32 v6, 28, v5
	ds_read2_b32 v[1:2], v6 offset1:1
	ds_read2_b32 v[3:4], v6 offset0:2 offset1:3
	ds_read2_b32 v[17:18], v6 offset0:4 offset1:5
	ds_read_b32 v19, v6 offset:24
	v_and_b32_e32 v6, 3, v5
	v_cmp_ne_u32_e32 vcc, 3, v6
	v_addc_co_u32_e32 v5, vcc, 0, v5, vcc
	v_lshlrev_b32_e32 v5, 2, v5
	s_waitcnt lgkmcnt(3)
	ds_bpermute_b32 v11, v5, v1
	ds_bpermute_b32 v15, v5, v2
	s_waitcnt lgkmcnt(4)
	ds_bpermute_b32 v14, v5, v3
	ds_bpermute_b32 v16, v5, v4
	;; [unrolled: 3-line block ×3, first 2 shown]
	s_waitcnt lgkmcnt(6)
	ds_bpermute_b32 v7, v5, v19
	s_add_i32 s10, s10, 63
	s_lshr_b32 s14, s10, 6
	v_add_u32_e32 v12, 1, v6
	v_cmp_gt_u32_e32 vcc, s14, v12
	v_mov_b32_e32 v13, v18
	v_mov_b32_e32 v12, v17
	v_mov_b32_e32 v5, v1
	s_and_saveexec_b64 s[10:11], vcc
	s_cbranch_execz .LBB13_49
; %bb.48:
	s_waitcnt lgkmcnt(3)
	v_sub_f32_e32 v12, v16, v4
	v_add_f32_e32 v5, v1, v11
	v_mul_f32_e32 v13, v12, v11
	v_div_scale_f32 v16, s[0:1], v5, v5, v13
	v_cmp_gt_f32_e64 s[0:1], v2, v15
	v_cndmask_b32_e64 v2, v2, v15, s[0:1]
	v_mul_f32_e32 v15, v12, v12
	v_div_scale_f32 v20, vcc, v13, v5, v13
	v_mul_f32_e32 v22, v1, v15
	v_cmp_lt_f32_e64 s[0:1], v3, v14
	v_mul_f32_e32 v22, v22, v11
	v_cndmask_b32_e64 v3, v3, v14, s[0:1]
	v_div_scale_f32 v24, s[0:1], v5, v5, v22
	v_div_scale_f32 v29, s[0:1], v22, v5, v22
	v_mul_f32_e32 v25, v12, v15
	v_rcp_f32_e32 v23, v16
	v_mul_f32_e32 v26, v12, v25
	v_mul_f32_e32 v25, v1, v25
	;; [unrolled: 1-line block ×3, first 2 shown]
	v_fma_f32 v27, -v16, v23, 1.0
	v_fmac_f32_e32 v23, v27, v23
	v_mul_f32_e32 v27, v20, v23
	v_fma_f32 v28, -v16, v27, v20
	v_fmac_f32_e32 v27, v28, v23
	v_sub_f32_e32 v30, v1, v11
	v_mul_f32_e32 v14, v5, v5
	v_rcp_f32_e32 v28, v24
	v_mul_f32_e32 v25, v30, v25
	v_fma_f32 v16, -v16, v27, v20
	v_div_scale_f32 v30, s[2:3], v14, v14, v25
	v_fma_f32 v20, -v24, v28, 1.0
	v_fmac_f32_e32 v28, v20, v28
	v_div_fmas_f32 v16, v16, v23, v27
	v_mul_f32_e32 v23, v29, v28
	v_fma_f32 v27, -v24, v23, v29
	v_fmac_f32_e32 v23, v27, v28
	v_fma_f32 v24, -v24, v23, v29
	s_mov_b64 vcc, s[0:1]
	v_div_fmas_f32 v23, v24, v28, v23
	v_mul_f32_e32 v28, v17, v11
	v_div_scale_f32 v20, s[2:3], v25, v14, v25
	v_mul_f32_e32 v27, 0x40400000, v12
	s_waitcnt lgkmcnt(2)
	v_fma_f32 v28, v1, v10, -v28
	v_mul_f32_e32 v27, v27, v28
	v_div_scale_f32 v28, s[0:1], v5, v5, v27
	v_div_scale_f32 v31, s[0:1], v27, v5, v27
	v_rcp_f32_e32 v24, v30
	v_mul_f32_e32 v32, v1, v1
	v_mul_f32_e32 v26, v1, v26
	v_fma_f32 v33, -v1, v11, v32
	v_fma_f32 v29, -v30, v24, 1.0
	v_fmac_f32_e32 v24, v29, v24
	v_mul_f32_e32 v26, v26, v11
	v_mul_f32_e32 v29, v20, v24
	v_fma_f32 v34, -v30, v29, v20
	v_fmac_f32_e32 v29, v34, v24
	v_fmac_f32_e32 v33, v11, v11
	v_mul_f32_e32 v21, v5, v14
	v_rcp_f32_e32 v34, v28
	v_mul_f32_e32 v26, v33, v26
	v_fma_f32 v20, -v30, v29, v20
	s_mov_b64 vcc, s[2:3]
	v_div_scale_f32 v33, s[28:29], v21, v21, v26
	v_div_fmas_f32 v20, v20, v24, v29
	v_fma_f32 v24, -v28, v34, 1.0
	v_fmac_f32_e32 v34, v24, v34
	v_mul_f32_e32 v24, v31, v34
	v_fma_f32 v29, -v28, v24, v31
	v_fmac_f32_e32 v24, v29, v34
	v_fma_f32 v28, -v28, v24, v31
	s_mov_b64 vcc, s[0:1]
	v_div_fmas_f32 v24, v28, v34, v24
	v_div_scale_f32 v30, vcc, v26, v21, v26
	v_mul_f32_e32 v28, v11, v11
	v_mul_f32_e32 v31, v32, v10
	;; [unrolled: 1-line block ×3, first 2 shown]
	v_fmac_f32_e32 v31, v17, v28
	v_mul_f32_e32 v15, v15, v31
	v_div_scale_f32 v28, s[0:1], v14, v14, v15
	v_mul_f32_e32 v11, v18, v11
	v_rcp_f32_e32 v29, v33
	v_div_scale_f32 v32, s[0:1], v15, v14, v15
	v_mul_f32_e32 v12, 4.0, v12
	s_waitcnt lgkmcnt(1)
	v_fma_f32 v1, v1, v9, -v11
	v_mul_f32_e32 v1, v12, v1
	v_div_scale_f32 v11, s[2:3], v5, v5, v1
	v_fma_f32 v31, -v33, v29, 1.0
	v_fmac_f32_e32 v29, v31, v29
	v_mul_f32_e32 v12, v30, v29
	v_fma_f32 v31, -v33, v12, v30
	v_fmac_f32_e32 v12, v31, v29
	v_div_scale_f32 v31, s[2:3], v1, v5, v1
	v_rcp_f32_e32 v34, v28
	v_fma_f32 v30, -v33, v12, v30
	v_div_fmas_f32 v29, v30, v29, v12
	s_mov_b64 vcc, s[0:1]
	v_fma_f32 v12, -v28, v34, 1.0
	v_fmac_f32_e32 v34, v12, v34
	v_mul_f32_e32 v12, v32, v34
	v_fma_f32 v30, -v28, v12, v32
	v_fmac_f32_e32 v12, v30, v34
	v_rcp_f32_e32 v30, v11
	v_fma_f32 v28, -v28, v12, v32
	v_div_fmas_f32 v28, v28, v34, v12
	s_mov_b64 vcc, s[2:3]
	v_fma_f32 v12, -v11, v30, 1.0
	v_fmac_f32_e32 v30, v12, v30
	v_mul_f32_e32 v12, v31, v30
	v_fma_f32 v32, -v11, v12, v31
	v_fmac_f32_e32 v12, v32, v30
	v_fma_f32 v11, -v11, v12, v31
	v_div_fmas_f32 v11, v11, v30, v12
	v_div_fixup_f32 v12, v16, v5, v13
	v_add_f32_e32 v4, v4, v12
	v_add_f32_e32 v10, v17, v10
	v_div_fixup_f32 v12, v23, v5, v22
	v_add_f32_e32 v12, v10, v12
	v_add_f32_e32 v9, v18, v9
	v_div_fixup_f32 v10, v20, v14, v25
	v_add_f32_e32 v9, v9, v10
	v_div_fixup_f32 v10, v24, v5, v27
	v_add_f32_e32 v13, v10, v9
	s_waitcnt lgkmcnt(0)
	v_add_f32_e32 v7, v19, v7
	v_div_fixup_f32 v9, v29, v21, v26
	v_add_f32_e32 v7, v7, v9
	v_div_fixup_f32 v9, v28, v14, v15
	v_add_f32_e32 v7, v9, v7
	v_div_fixup_f32 v1, v11, v5, v1
	v_add_f32_e32 v19, v1, v7
	v_mov_b32_e32 v17, v12
	v_mov_b32_e32 v1, v5
	;; [unrolled: 1-line block ×3, first 2 shown]
.LBB13_49:
	s_or_b64 exec, exec, s[10:11]
	s_waitcnt lgkmcnt(5)
	v_or_b32_e32 v15, 8, v8
	s_waitcnt lgkmcnt(1)
	ds_bpermute_b32 v9, v15, v5
	ds_bpermute_b32 v11, v15, v2
	;; [unrolled: 1-line block ×5, first 2 shown]
	s_waitcnt lgkmcnt(5)
	ds_bpermute_b32 v7, v15, v13
	ds_bpermute_b32 v5, v15, v19
	v_add_u32_e32 v6, 2, v6
	v_cmp_gt_u32_e32 vcc, s14, v6
	s_and_saveexec_b64 s[10:11], vcc
	s_cbranch_execz .LBB13_51
; %bb.50:
	s_waitcnt lgkmcnt(3)
	v_sub_f32_e32 v12, v14, v4
	v_add_f32_e32 v6, v1, v9
	v_mul_f32_e32 v13, v12, v9
	v_div_scale_f32 v14, s[0:1], v6, v6, v13
	v_cmp_gt_f32_e64 s[0:1], v2, v11
	v_cndmask_b32_e64 v2, v2, v11, s[0:1]
	v_mul_f32_e32 v11, v12, v12
	v_div_scale_f32 v15, vcc, v13, v6, v13
	v_mul_f32_e32 v20, v1, v11
	v_cmp_lt_f32_e64 s[0:1], v3, v10
	v_mul_f32_e32 v20, v20, v9
	v_cndmask_b32_e64 v3, v3, v10, s[0:1]
	v_div_scale_f32 v22, s[0:1], v6, v6, v20
	v_div_scale_f32 v27, s[0:1], v20, v6, v20
	v_mul_f32_e32 v23, v12, v11
	v_rcp_f32_e32 v21, v14
	v_mul_f32_e32 v24, v12, v23
	v_mul_f32_e32 v23, v1, v23
	;; [unrolled: 1-line block ×3, first 2 shown]
	v_fma_f32 v25, -v14, v21, 1.0
	v_fmac_f32_e32 v21, v25, v21
	v_mul_f32_e32 v25, v15, v21
	v_fma_f32 v26, -v14, v25, v15
	v_fmac_f32_e32 v25, v26, v21
	v_sub_f32_e32 v28, v1, v9
	v_mul_f32_e32 v10, v6, v6
	v_rcp_f32_e32 v26, v22
	v_mul_f32_e32 v23, v28, v23
	v_fma_f32 v14, -v14, v25, v15
	v_div_scale_f32 v28, s[2:3], v10, v10, v23
	v_fma_f32 v15, -v22, v26, 1.0
	v_fmac_f32_e32 v26, v15, v26
	v_div_fmas_f32 v14, v14, v21, v25
	v_mul_f32_e32 v21, v27, v26
	v_fma_f32 v25, -v22, v21, v27
	v_fmac_f32_e32 v21, v25, v26
	v_fma_f32 v22, -v22, v21, v27
	s_mov_b64 vcc, s[0:1]
	v_div_fmas_f32 v21, v22, v26, v21
	v_mul_f32_e32 v26, v17, v9
	v_div_scale_f32 v15, s[2:3], v23, v10, v23
	v_mul_f32_e32 v25, 0x40400000, v12
	s_waitcnt lgkmcnt(2)
	v_fma_f32 v26, v1, v8, -v26
	v_mul_f32_e32 v25, v25, v26
	v_div_scale_f32 v26, s[0:1], v6, v6, v25
	v_div_scale_f32 v29, s[0:1], v25, v6, v25
	v_rcp_f32_e32 v22, v28
	v_mul_f32_e32 v30, v1, v1
	v_mul_f32_e32 v24, v1, v24
	v_fma_f32 v31, -v1, v9, v30
	v_fma_f32 v27, -v28, v22, 1.0
	v_fmac_f32_e32 v22, v27, v22
	v_mul_f32_e32 v24, v24, v9
	v_mul_f32_e32 v27, v15, v22
	v_fma_f32 v32, -v28, v27, v15
	v_fmac_f32_e32 v27, v32, v22
	v_fmac_f32_e32 v31, v9, v9
	v_mul_f32_e32 v16, v6, v10
	v_rcp_f32_e32 v32, v26
	v_mul_f32_e32 v24, v31, v24
	v_fma_f32 v15, -v28, v27, v15
	s_mov_b64 vcc, s[2:3]
	v_div_scale_f32 v31, s[14:15], v16, v16, v24
	v_div_fmas_f32 v15, v15, v22, v27
	v_fma_f32 v22, -v26, v32, 1.0
	v_fmac_f32_e32 v32, v22, v32
	v_mul_f32_e32 v22, v29, v32
	v_fma_f32 v27, -v26, v22, v29
	v_fmac_f32_e32 v22, v27, v32
	v_fma_f32 v26, -v26, v22, v29
	s_mov_b64 vcc, s[0:1]
	v_div_fmas_f32 v22, v26, v32, v22
	v_div_scale_f32 v28, vcc, v24, v16, v24
	v_mul_f32_e32 v26, v9, v9
	v_mul_f32_e32 v29, v30, v8
	;; [unrolled: 1-line block ×3, first 2 shown]
	v_fmac_f32_e32 v29, v17, v26
	v_mul_f32_e32 v11, v11, v29
	v_div_scale_f32 v26, s[0:1], v10, v10, v11
	v_mul_f32_e32 v9, v18, v9
	v_rcp_f32_e32 v27, v31
	v_div_scale_f32 v30, s[0:1], v11, v10, v11
	v_mul_f32_e32 v12, 4.0, v12
	s_waitcnt lgkmcnt(1)
	v_fma_f32 v1, v1, v7, -v9
	v_mul_f32_e32 v1, v12, v1
	v_div_scale_f32 v9, s[2:3], v6, v6, v1
	v_fma_f32 v29, -v31, v27, 1.0
	v_fmac_f32_e32 v27, v29, v27
	v_mul_f32_e32 v12, v28, v27
	v_fma_f32 v29, -v31, v12, v28
	v_fmac_f32_e32 v12, v29, v27
	v_div_scale_f32 v29, s[2:3], v1, v6, v1
	v_rcp_f32_e32 v32, v26
	v_fma_f32 v28, -v31, v12, v28
	v_div_fmas_f32 v12, v28, v27, v12
	s_mov_b64 vcc, s[0:1]
	v_fma_f32 v27, -v26, v32, 1.0
	v_fmac_f32_e32 v32, v27, v32
	v_mul_f32_e32 v27, v30, v32
	v_fma_f32 v28, -v26, v27, v30
	v_fmac_f32_e32 v27, v28, v32
	v_rcp_f32_e32 v28, v9
	v_fma_f32 v26, -v26, v27, v30
	v_div_fmas_f32 v26, v26, v32, v27
	s_mov_b64 vcc, s[2:3]
	v_fma_f32 v27, -v9, v28, 1.0
	v_fmac_f32_e32 v28, v27, v28
	v_mul_f32_e32 v27, v29, v28
	v_fma_f32 v30, -v9, v27, v29
	v_fmac_f32_e32 v27, v30, v28
	v_fma_f32 v9, -v9, v27, v29
	v_div_fmas_f32 v9, v9, v28, v27
	v_div_fixup_f32 v13, v14, v6, v13
	v_add_f32_e32 v4, v4, v13
	v_add_f32_e32 v8, v17, v8
	v_div_fixup_f32 v13, v21, v6, v20
	s_waitcnt lgkmcnt(0)
	v_add_f32_e32 v5, v19, v5
	v_div_fixup_f32 v12, v12, v16, v24
	v_add_f32_e32 v17, v8, v13
	v_add_f32_e32 v7, v18, v7
	v_div_fixup_f32 v13, v15, v10, v23
	v_add_f32_e32 v5, v5, v12
	v_div_fixup_f32 v10, v26, v10, v11
	;; [unrolled: 2-line block ×3, first 2 shown]
	v_add_f32_e32 v5, v10, v5
	v_add_f32_e32 v18, v13, v7
	v_div_fixup_f32 v1, v9, v6, v1
	v_add_f32_e32 v19, v1, v5
	v_mov_b32_e32 v1, v6
.LBB13_51:
	s_or_b64 exec, exec, s[10:11]
.LBB13_52:
	s_or_b64 exec, exec, s[8:9]
.LBB13_53:
	v_cmp_eq_u32_e32 vcc, 0, v0
	s_mov_b64 s[28:29], 0
                                        ; implicit-def: $vgpr14
                                        ; implicit-def: $vgpr8
	s_and_saveexec_b64 s[0:1], vcc
	s_xor_b64 s[8:9], exec, s[0:1]
	s_cbranch_execz .LBB13_57
; %bb.54:
	s_cmp_eq_u64 s[26:27], 0
	s_waitcnt lgkmcnt(3)
	v_mov_b32_e32 v14, s22
	v_mov_b32_e32 v13, s21
	;; [unrolled: 1-line block ×3, first 2 shown]
	s_waitcnt lgkmcnt(2)
	v_mov_b32_e32 v8, s19
	s_waitcnt lgkmcnt(1)
	v_mov_b32_e32 v7, s18
	v_mov_b32_e32 v6, s17
	s_waitcnt lgkmcnt(0)
	v_mov_b32_e32 v5, s16
	s_cbranch_scc1 .LBB13_56
; %bb.55:
	v_subrev_f32_e32 v4, s19, v4
	v_add_f32_e32 v5, s16, v1
	v_mul_f32_e32 v8, v4, v1
	v_div_scale_f32 v9, s[0:1], v5, v5, v8
	v_mul_f32_e32 v12, v4, v4
	v_div_scale_f32 v11, vcc, v8, v5, v8
	v_mul_f32_e32 v14, s16, v12
	v_mov_b32_e32 v6, s17
	v_cmp_gt_f32_e64 s[0:1], s17, v2
	v_mul_f32_e32 v14, v1, v14
	v_cndmask_b32_e64 v6, v6, v2, s[0:1]
	v_div_scale_f32 v20, s[0:1], v5, v5, v14
	v_mov_b32_e32 v7, s18
	v_cmp_lt_f32_e64 s[0:1], s18, v3
	v_cndmask_b32_e64 v7, v7, v3, s[0:1]
	v_div_scale_f32 v22, s[0:1], v14, v5, v14
	v_rcp_f32_e32 v16, v9
	v_mul_f32_e32 v13, v4, v12
	v_mul_f32_e32 v15, v4, v13
	;; [unrolled: 1-line block ×3, first 2 shown]
	v_fma_f32 v3, -v9, v16, 1.0
	v_fmac_f32_e32 v16, v3, v16
	v_mul_f32_e32 v3, v11, v16
	v_fma_f32 v21, -v9, v3, v11
	v_fmac_f32_e32 v3, v21, v16
	v_rcp_f32_e32 v21, v20
	v_mul_f32_e32 v13, v1, v13
	v_sub_f32_e32 v23, s16, v1
	v_fma_f32 v9, -v9, v3, v11
	v_mul_f32_e32 v10, v5, v5
	v_mul_f32_e32 v13, v23, v13
	v_div_fmas_f32 v3, v9, v16, v3
	v_fma_f32 v9, -v20, v21, 1.0
	v_div_scale_f32 v23, s[2:3], v10, v10, v13
	v_fmac_f32_e32 v21, v9, v21
	v_mul_f32_e32 v11, v22, v21
	v_fma_f32 v16, -v20, v11, v22
	v_fmac_f32_e32 v11, v16, v21
	v_fma_f32 v16, -v20, v11, v22
	s_mov_b64 vcc, s[0:1]
	v_div_fmas_f32 v11, v16, v21, v11
	v_mul_f32_e32 v21, s20, v1
	v_div_scale_f32 v9, s[2:3], v13, v10, v13
	v_mul_f32_e32 v20, 0x40400000, v4
	v_fma_f32 v21, s16, v17, -v21
	v_mul_f32_e32 v20, v20, v21
	v_div_scale_f32 v21, s[0:1], v5, v5, v20
	v_div_scale_f32 v24, s[0:1], v20, v5, v20
	v_rcp_f32_e32 v16, v23
	v_mul_f32_e64 v25, s16, s16
	v_mul_f32_e32 v15, s16, v15
	v_fma_f32 v26, -s16, v1, v25
	v_fma_f32 v22, -v23, v16, 1.0
	v_fmac_f32_e32 v16, v22, v16
	v_mul_f32_e32 v15, v1, v15
	v_mul_f32_e32 v22, v9, v16
	v_fma_f32 v27, -v23, v22, v9
	v_fmac_f32_e32 v22, v27, v16
	v_fmac_f32_e32 v26, v1, v1
	v_mul_f32_e32 v2, v5, v10
	v_rcp_f32_e32 v27, v21
	v_mul_f32_e32 v15, v26, v15
	v_fma_f32 v9, -v23, v22, v9
	s_mov_b64 vcc, s[2:3]
	v_div_scale_f32 v26, s[10:11], v2, v2, v15
	v_div_fmas_f32 v9, v9, v16, v22
	v_fma_f32 v16, -v21, v27, 1.0
	v_fmac_f32_e32 v27, v16, v27
	v_mul_f32_e32 v16, v24, v27
	v_fma_f32 v22, -v21, v16, v24
	v_fmac_f32_e32 v16, v22, v27
	v_fma_f32 v21, -v21, v16, v24
	s_mov_b64 vcc, s[0:1]
	v_div_fmas_f32 v16, v21, v27, v16
	v_mul_f32_e32 v21, v1, v1
	v_div_scale_f32 v23, vcc, v15, v2, v15
	v_mul_f32_e32 v21, s20, v21
	v_mul_f32_e32 v12, 0x40c00000, v12
	v_fmac_f32_e32 v21, v25, v17
	v_mul_f32_e32 v21, v12, v21
	v_div_scale_f32 v12, s[0:1], v10, v10, v21
	v_mul_f32_e32 v1, s21, v1
	v_rcp_f32_e32 v22, v26
	v_div_scale_f32 v25, s[0:1], v21, v10, v21
	v_mul_f32_e32 v4, 4.0, v4
	v_fma_f32 v1, s16, v18, -v1
	v_mul_f32_e32 v1, v4, v1
	v_div_scale_f32 v4, s[2:3], v5, v5, v1
	v_fma_f32 v24, -v26, v22, 1.0
	v_fmac_f32_e32 v22, v24, v22
	v_mul_f32_e32 v24, v23, v22
	v_fma_f32 v27, -v26, v24, v23
	v_fmac_f32_e32 v24, v27, v22
	v_div_scale_f32 v27, s[2:3], v1, v5, v1
	v_rcp_f32_e32 v28, v12
	v_fma_f32 v23, -v26, v24, v23
	v_div_fmas_f32 v22, v23, v22, v24
	s_mov_b64 vcc, s[0:1]
	v_fma_f32 v23, -v12, v28, 1.0
	v_fmac_f32_e32 v28, v23, v28
	v_mul_f32_e32 v23, v25, v28
	v_fma_f32 v24, -v12, v23, v25
	v_fmac_f32_e32 v23, v24, v28
	v_rcp_f32_e32 v24, v4
	v_fma_f32 v12, -v12, v23, v25
	v_div_fmas_f32 v23, v12, v28, v23
	s_mov_b64 vcc, s[2:3]
	v_fma_f32 v12, -v4, v24, 1.0
	v_fmac_f32_e32 v24, v12, v24
	v_mul_f32_e32 v12, v27, v24
	v_fma_f32 v25, -v4, v12, v27
	v_fmac_f32_e32 v12, v25, v24
	v_fma_f32 v4, -v4, v12, v27
	v_div_fmas_f32 v4, v4, v24, v12
	v_div_fixup_f32 v3, v3, v5, v8
	v_add_f32_e32 v8, s19, v3
	v_add_f32_e32 v3, s20, v17
	v_div_fixup_f32 v11, v11, v5, v14
	v_add_f32_e32 v12, v3, v11
	v_add_f32_e32 v3, s21, v18
	v_div_fixup_f32 v9, v9, v10, v13
	v_add_f32_e32 v3, v3, v9
	v_div_fixup_f32 v9, v16, v5, v20
	v_add_f32_e32 v13, v9, v3
	v_add_f32_e32 v3, s22, v19
	v_div_fixup_f32 v2, v22, v2, v15
	v_add_f32_e32 v2, v3, v2
	v_div_fixup_f32 v3, v23, v10, v21
	;; [unrolled: 2-line block ×3, first 2 shown]
	v_add_f32_e32 v14, v1, v2
.LBB13_56:
	s_mov_b64 s[28:29], exec
.LBB13_57:
	s_or_b64 exec, exec, s[8:9]
	s_and_b64 vcc, exec, s[12:13]
	s_cbranch_vccnz .LBB13_12
.LBB13_58:
	s_branch .LBB13_98
.LBB13_59:
                                        ; implicit-def: $vgpr1
                                        ; implicit-def: $vgpr9
	s_cbranch_execz .LBB13_85
; %bb.60:
	s_sub_i32 s23, s26, s14
	v_cmp_gt_u32_e32 vcc, s23, v0
                                        ; implicit-def: $vgpr11
                                        ; implicit-def: $vgpr4
	s_and_saveexec_b64 s[0:1], vcc
	s_cbranch_execz .LBB13_62
; %bb.61:
	s_waitcnt lgkmcnt(0)
	v_mad_u64_u32 v[5:6], s[2:3], v0, 28, s[12:13]
	global_load_dwordx4 v[1:4], v[5:6], off
	global_load_dwordx3 v[9:11], v[5:6], off offset:16
.LBB13_62:
	s_or_b64 exec, exec, s[0:1]
	s_waitcnt lgkmcnt(0)
	v_or_b32_e32 v5, 0x100, v0
	v_cmp_gt_u32_e32 vcc, s23, v5
	s_and_saveexec_b64 s[30:31], vcc
	s_cbranch_execz .LBB13_64
; %bb.63:
	v_mad_u64_u32 v[15:16], s[0:1], v5, 28, s[12:13]
	global_load_dwordx4 v[5:8], v[15:16], off
	global_load_dwordx3 v[12:14], v[15:16], off offset:16
	s_waitcnt vmcnt(3)
	v_mul_f32_e32 v15, v1, v1
	s_waitcnt vmcnt(1)
	v_cmp_lt_f32_e32 vcc, v6, v2
	v_cndmask_b32_e32 v2, v2, v6, vcc
	v_cmp_lt_f32_e32 vcc, v3, v7
	v_sub_f32_e32 v8, v8, v4
	v_cndmask_b32_e32 v3, v3, v7, vcc
	v_mul_f32_e32 v7, v9, v5
	v_mul_f32_e32 v16, v5, v5
	v_add_f32_e32 v17, v1, v5
	v_fma_f32 v18, -v1, v5, v15
	s_waitcnt vmcnt(0)
	v_mul_f32_e32 v15, v15, v12
	v_mul_f32_e32 v19, v10, v5
	;; [unrolled: 1-line block ×5, first 2 shown]
	v_fma_f32 v7, v1, v12, -v7
	v_fmac_f32_e32 v15, v9, v16
	v_mul_f32_e32 v16, 4.0, v8
	v_fma_f32 v19, v1, v13, -v19
	v_mul_f32_e32 v25, v8, v21
	v_div_scale_f32 v26, s[0:1], v17, v17, v22
	v_mul_f32_e32 v28, v1, v21
	v_mul_f32_e32 v7, v23, v7
	;; [unrolled: 1-line block ×6, first 2 shown]
	v_div_scale_f32 v25, s[0:1], v17, v17, v7
	v_mul_f32_e32 v21, 0x40c00000, v21
	v_div_scale_f32 v30, s[8:9], v17, v17, v19
	v_sub_f32_e32 v6, v1, v5
	v_mul_f32_e32 v20, v17, v17
	v_mul_f32_e32 v15, v21, v15
	;; [unrolled: 1-line block ×4, first 2 shown]
	v_div_scale_f32 v8, s[8:9], v20, v20, v15
	v_mul_f32_e32 v6, v6, v23
	v_fmac_f32_e32 v18, v5, v5
	v_mul_f32_e32 v1, v5, v1
	v_div_scale_f32 v5, s[8:9], v20, v20, v6
	v_div_scale_f32 v27, vcc, v22, v17, v22
	v_mul_f32_e32 v24, v17, v20
	v_mul_f32_e32 v1, v18, v1
	v_div_scale_f32 v28, s[0:1], v7, v17, v7
	v_div_scale_f32 v18, s[8:9], v24, v24, v1
	v_div_scale_f32 v23, s[8:9], v19, v17, v19
	v_div_scale_f32 v32, s[12:13], v6, v20, v6
	v_div_scale_f32 v21, s[2:3], v17, v17, v16
	v_rcp_f32_e32 v34, v26
	v_div_scale_f32 v33, s[14:15], v1, v24, v1
	v_rcp_f32_e32 v35, v25
	v_rcp_f32_e32 v36, v30
	v_div_scale_f32 v31, s[10:11], v15, v20, v15
	v_rcp_f32_e32 v37, v8
	v_fma_f32 v38, -v26, v34, 1.0
	v_div_scale_f32 v29, s[2:3], v16, v17, v16
	v_rcp_f32_e32 v39, v5
	v_fmac_f32_e32 v34, v38, v34
	v_fma_f32 v38, -v25, v35, 1.0
	v_mul_f32_e32 v41, v27, v34
	v_fmac_f32_e32 v35, v38, v35
	v_fma_f32 v38, -v30, v36, 1.0
	v_fmac_f32_e32 v36, v38, v36
	v_fma_f32 v38, -v26, v41, v27
	v_fma_f32 v42, -v8, v37, 1.0
	v_mul_f32_e32 v43, v28, v35
	v_fmac_f32_e32 v41, v38, v34
	v_fmac_f32_e32 v37, v42, v37
	v_mul_f32_e32 v38, v23, v36
	v_fma_f32 v42, -v5, v39, 1.0
	v_fma_f32 v26, -v26, v41, v27
	v_fma_f32 v27, -v25, v43, v28
	v_fmac_f32_e32 v39, v42, v39
	v_fmac_f32_e32 v43, v27, v35
	v_fma_f32 v27, -v30, v38, v23
	v_rcp_f32_e32 v40, v18
	v_fmac_f32_e32 v38, v27, v36
	v_mul_f32_e32 v27, v32, v39
	v_fma_f32 v25, -v25, v43, v28
	v_fma_f32 v28, -v5, v27, v32
	v_div_fmas_f32 v26, v26, v34, v41
	v_fma_f32 v23, -v30, v38, v23
	s_mov_b64 vcc, s[8:9]
	v_fmac_f32_e32 v27, v28, v39
	v_div_fmas_f32 v23, v23, v36, v38
	v_fma_f32 v5, -v5, v27, v32
	s_mov_b64 vcc, s[12:13]
	v_fma_f32 v34, -v18, v40, 1.0
	v_div_fmas_f32 v5, v5, v39, v27
	v_rcp_f32_e32 v27, v21
	v_fmac_f32_e32 v40, v34, v40
	v_mul_f32_e32 v30, v33, v40
	v_fma_f32 v28, -v18, v30, v33
	v_fmac_f32_e32 v30, v28, v40
	v_fma_f32 v28, -v21, v27, 1.0
	v_mul_f32_e32 v42, v31, v37
	s_mov_b64 vcc, s[0:1]
	v_fmac_f32_e32 v27, v28, v27
	v_fma_f32 v41, -v8, v42, v31
	v_fma_f32 v18, -v18, v30, v33
	v_div_fmas_f32 v25, v25, v35, v43
	s_mov_b64 vcc, s[14:15]
	v_mul_f32_e32 v28, v29, v27
	v_div_fmas_f32 v18, v18, v40, v30
	v_fmac_f32_e32 v42, v41, v37
	v_fma_f32 v30, -v21, v28, v29
	v_fma_f32 v8, -v8, v42, v31
	s_mov_b64 vcc, s[10:11]
	v_fmac_f32_e32 v28, v30, v27
	v_div_fmas_f32 v8, v8, v37, v42
	v_fma_f32 v21, -v21, v28, v29
	s_mov_b64 vcc, s[2:3]
	v_div_fmas_f32 v21, v21, v27, v28
	v_add_f32_e32 v10, v10, v13
	v_div_fixup_f32 v5, v5, v20, v6
	v_add_f32_e32 v5, v10, v5
	v_div_fixup_f32 v6, v25, v17, v7
	v_add_f32_e32 v10, v6, v5
	v_add_f32_e32 v6, v11, v14
	v_div_fixup_f32 v1, v18, v24, v1
	v_add_f32_e32 v1, v6, v1
	v_div_fixup_f32 v22, v26, v17, v22
	;; [unrolled: 2-line block ×4, first 2 shown]
	v_add_f32_e32 v1, v6, v1
	v_add_f32_e32 v9, v9, v12
	v_div_fixup_f32 v6, v21, v17, v16
	v_add_f32_e32 v11, v6, v1
	v_mov_b32_e32 v1, v17
.LBB13_64:
	s_or_b64 exec, exec, s[30:31]
	v_mbcnt_lo_u32_b32 v5, -1, 0
	v_mbcnt_hi_u32_b32 v5, -1, v5
	v_and_b32_e32 v6, 63, v5
	v_cmp_ne_u32_e32 vcc, 63, v6
	v_addc_co_u32_e32 v7, vcc, 0, v5, vcc
	v_lshlrev_b32_e32 v7, 2, v7
	s_waitcnt vmcnt(1)
	ds_bpermute_b32 v14, v7, v1
	ds_bpermute_b32 v16, v7, v2
	;; [unrolled: 1-line block ×4, first 2 shown]
	s_waitcnt vmcnt(0)
	ds_bpermute_b32 v13, v7, v9
	ds_bpermute_b32 v12, v7, v10
	;; [unrolled: 1-line block ×3, first 2 shown]
	s_min_u32 s10, s23, 0x100
	v_and_b32_e32 v7, 0xc0, v0
	v_sub_u32_e64 v7, s10, v7 clamp
	v_add_u32_e32 v18, 1, v6
	v_cmp_lt_u32_e32 vcc, v18, v7
	s_and_saveexec_b64 s[0:1], vcc
	s_xor_b64 s[8:9], exec, s[0:1]
	s_cbranch_execz .LBB13_66
; %bb.65:
	s_waitcnt lgkmcnt(3)
	v_sub_f32_e32 v17, v17, v4
	v_add_f32_e32 v18, v1, v14
	v_mul_f32_e32 v19, v17, v14
	v_div_scale_f32 v20, s[0:1], v18, v18, v19
	v_cmp_gt_f32_e64 s[0:1], v2, v16
	v_cndmask_b32_e64 v2, v2, v16, s[0:1]
	v_mul_f32_e32 v16, v17, v17
	v_div_scale_f32 v21, vcc, v19, v18, v19
	v_mul_f32_e32 v23, v1, v16
	v_cmp_lt_f32_e64 s[0:1], v3, v15
	v_mul_f32_e32 v23, v23, v14
	v_cndmask_b32_e64 v3, v3, v15, s[0:1]
	v_div_scale_f32 v25, s[0:1], v18, v18, v23
	v_div_scale_f32 v30, s[0:1], v23, v18, v23
	v_mul_f32_e32 v26, v17, v16
	v_rcp_f32_e32 v24, v20
	v_mul_f32_e32 v27, v17, v26
	v_mul_f32_e32 v26, v1, v26
	;; [unrolled: 1-line block ×3, first 2 shown]
	v_fma_f32 v28, -v20, v24, 1.0
	v_fmac_f32_e32 v24, v28, v24
	v_mul_f32_e32 v28, v21, v24
	v_fma_f32 v29, -v20, v28, v21
	v_fmac_f32_e32 v28, v29, v24
	v_sub_f32_e32 v31, v1, v14
	v_mul_f32_e32 v15, v18, v18
	v_rcp_f32_e32 v29, v25
	v_mul_f32_e32 v26, v31, v26
	v_fma_f32 v20, -v20, v28, v21
	v_div_scale_f32 v31, s[2:3], v15, v15, v26
	v_fma_f32 v21, -v25, v29, 1.0
	v_fmac_f32_e32 v29, v21, v29
	v_div_fmas_f32 v20, v20, v24, v28
	v_mul_f32_e32 v24, v30, v29
	v_fma_f32 v28, -v25, v24, v30
	v_fmac_f32_e32 v24, v28, v29
	v_fma_f32 v25, -v25, v24, v30
	s_mov_b64 vcc, s[0:1]
	v_div_fmas_f32 v24, v25, v29, v24
	v_mul_f32_e32 v29, v9, v14
	v_div_scale_f32 v21, s[2:3], v26, v15, v26
	v_mul_f32_e32 v28, 0x40400000, v17
	s_waitcnt lgkmcnt(2)
	v_fma_f32 v29, v1, v13, -v29
	v_mul_f32_e32 v28, v28, v29
	v_div_scale_f32 v29, s[0:1], v18, v18, v28
	v_div_scale_f32 v32, s[0:1], v28, v18, v28
	v_rcp_f32_e32 v25, v31
	v_mul_f32_e32 v33, v1, v1
	v_mul_f32_e32 v27, v1, v27
	v_fma_f32 v34, -v1, v14, v33
	v_fma_f32 v30, -v31, v25, 1.0
	v_fmac_f32_e32 v25, v30, v25
	v_mul_f32_e32 v27, v27, v14
	v_mul_f32_e32 v30, v21, v25
	v_fma_f32 v35, -v31, v30, v21
	v_fmac_f32_e32 v30, v35, v25
	v_fmac_f32_e32 v34, v14, v14
	v_mul_f32_e32 v22, v18, v15
	v_rcp_f32_e32 v35, v29
	v_mul_f32_e32 v27, v34, v27
	v_fma_f32 v21, -v31, v30, v21
	s_mov_b64 vcc, s[2:3]
	v_div_scale_f32 v34, s[12:13], v22, v22, v27
	v_div_fmas_f32 v21, v21, v25, v30
	v_fma_f32 v25, -v29, v35, 1.0
	v_fmac_f32_e32 v35, v25, v35
	v_mul_f32_e32 v25, v32, v35
	v_fma_f32 v30, -v29, v25, v32
	v_fmac_f32_e32 v25, v30, v35
	v_fma_f32 v29, -v29, v25, v32
	s_mov_b64 vcc, s[0:1]
	v_div_fmas_f32 v25, v29, v35, v25
	v_div_scale_f32 v31, vcc, v27, v22, v27
	v_mul_f32_e32 v29, v14, v14
	v_mul_f32_e32 v32, v33, v13
	;; [unrolled: 1-line block ×3, first 2 shown]
	v_fmac_f32_e32 v32, v9, v29
	v_mul_f32_e32 v16, v16, v32
	v_div_scale_f32 v29, s[0:1], v15, v15, v16
	v_mul_f32_e32 v14, v10, v14
	v_rcp_f32_e32 v30, v34
	v_div_scale_f32 v33, s[0:1], v16, v15, v16
	v_mul_f32_e32 v17, 4.0, v17
	s_waitcnt lgkmcnt(1)
	v_fma_f32 v1, v1, v12, -v14
	v_mul_f32_e32 v1, v17, v1
	v_div_scale_f32 v14, s[2:3], v18, v18, v1
	v_fma_f32 v32, -v34, v30, 1.0
	v_fmac_f32_e32 v30, v32, v30
	v_mul_f32_e32 v17, v31, v30
	v_fma_f32 v32, -v34, v17, v31
	v_fmac_f32_e32 v17, v32, v30
	v_div_scale_f32 v32, s[2:3], v1, v18, v1
	v_rcp_f32_e32 v35, v29
	v_fma_f32 v31, -v34, v17, v31
	v_div_fmas_f32 v17, v31, v30, v17
	s_mov_b64 vcc, s[0:1]
	v_fma_f32 v30, -v29, v35, 1.0
	v_fmac_f32_e32 v35, v30, v35
	v_mul_f32_e32 v30, v33, v35
	v_fma_f32 v31, -v29, v30, v33
	v_fmac_f32_e32 v30, v31, v35
	v_rcp_f32_e32 v31, v14
	v_fma_f32 v29, -v29, v30, v33
	v_div_fmas_f32 v29, v29, v35, v30
	s_mov_b64 vcc, s[2:3]
	v_fma_f32 v30, -v14, v31, 1.0
	v_fmac_f32_e32 v31, v30, v31
	v_mul_f32_e32 v30, v32, v31
	v_fma_f32 v33, -v14, v30, v32
	v_fmac_f32_e32 v30, v33, v31
	v_fma_f32 v14, -v14, v30, v32
	v_div_fmas_f32 v14, v14, v31, v30
	s_waitcnt lgkmcnt(0)
	v_add_f32_e32 v8, v11, v8
	v_div_fixup_f32 v11, v17, v22, v27
	v_add_f32_e32 v10, v10, v12
	v_div_fixup_f32 v12, v21, v15, v26
	;; [unrolled: 2-line block ×4, first 2 shown]
	v_div_fixup_f32 v13, v24, v18, v23
	v_add_f32_e32 v10, v10, v12
	v_div_fixup_f32 v12, v25, v18, v28
	v_add_f32_e32 v8, v11, v8
	v_add_f32_e32 v4, v4, v19
	;; [unrolled: 1-line block ×4, first 2 shown]
	v_div_fixup_f32 v1, v14, v18, v1
	v_add_f32_e32 v11, v1, v8
	v_mov_b32_e32 v1, v18
.LBB13_66:
	s_or_b64 exec, exec, s[8:9]
	v_cmp_gt_u32_e32 vcc, 62, v6
	s_waitcnt lgkmcnt(0)
	v_cndmask_b32_e64 v8, 0, 2, vcc
	v_add_lshl_u32 v8, v8, v5, 2
	ds_bpermute_b32 v14, v8, v1
	ds_bpermute_b32 v16, v8, v2
	;; [unrolled: 1-line block ×7, first 2 shown]
	v_add_u32_e32 v18, 2, v6
	v_cmp_lt_u32_e32 vcc, v18, v7
	s_and_saveexec_b64 s[8:9], vcc
	s_cbranch_execz .LBB13_68
; %bb.67:
	s_waitcnt lgkmcnt(3)
	v_sub_f32_e32 v17, v17, v4
	v_add_f32_e32 v18, v1, v14
	v_mul_f32_e32 v19, v17, v14
	v_div_scale_f32 v20, s[0:1], v18, v18, v19
	v_cmp_gt_f32_e64 s[0:1], v2, v16
	v_cndmask_b32_e64 v2, v2, v16, s[0:1]
	v_mul_f32_e32 v16, v17, v17
	v_div_scale_f32 v21, vcc, v19, v18, v19
	v_mul_f32_e32 v23, v1, v16
	v_cmp_lt_f32_e64 s[0:1], v3, v15
	v_mul_f32_e32 v23, v23, v14
	v_cndmask_b32_e64 v3, v3, v15, s[0:1]
	v_div_scale_f32 v25, s[0:1], v18, v18, v23
	v_div_scale_f32 v30, s[0:1], v23, v18, v23
	v_mul_f32_e32 v26, v17, v16
	v_rcp_f32_e32 v24, v20
	v_mul_f32_e32 v27, v17, v26
	v_mul_f32_e32 v26, v1, v26
	;; [unrolled: 1-line block ×3, first 2 shown]
	v_fma_f32 v28, -v20, v24, 1.0
	v_fmac_f32_e32 v24, v28, v24
	v_mul_f32_e32 v28, v21, v24
	v_fma_f32 v29, -v20, v28, v21
	v_fmac_f32_e32 v28, v29, v24
	v_sub_f32_e32 v31, v1, v14
	v_mul_f32_e32 v15, v18, v18
	v_rcp_f32_e32 v29, v25
	v_mul_f32_e32 v26, v31, v26
	v_fma_f32 v20, -v20, v28, v21
	v_div_scale_f32 v31, s[2:3], v15, v15, v26
	v_fma_f32 v21, -v25, v29, 1.0
	v_fmac_f32_e32 v29, v21, v29
	v_div_fmas_f32 v20, v20, v24, v28
	v_mul_f32_e32 v24, v30, v29
	v_fma_f32 v28, -v25, v24, v30
	v_fmac_f32_e32 v24, v28, v29
	v_fma_f32 v25, -v25, v24, v30
	s_mov_b64 vcc, s[0:1]
	v_div_fmas_f32 v24, v25, v29, v24
	v_mul_f32_e32 v29, v9, v14
	v_div_scale_f32 v21, s[2:3], v26, v15, v26
	v_mul_f32_e32 v28, 0x40400000, v17
	s_waitcnt lgkmcnt(2)
	v_fma_f32 v29, v1, v13, -v29
	v_mul_f32_e32 v28, v28, v29
	v_div_scale_f32 v29, s[0:1], v18, v18, v28
	v_div_scale_f32 v32, s[0:1], v28, v18, v28
	v_rcp_f32_e32 v25, v31
	v_mul_f32_e32 v33, v1, v1
	v_mul_f32_e32 v27, v1, v27
	v_fma_f32 v34, -v1, v14, v33
	v_fma_f32 v30, -v31, v25, 1.0
	v_fmac_f32_e32 v25, v30, v25
	v_mul_f32_e32 v27, v27, v14
	v_mul_f32_e32 v30, v21, v25
	v_fma_f32 v35, -v31, v30, v21
	v_fmac_f32_e32 v30, v35, v25
	v_fmac_f32_e32 v34, v14, v14
	v_mul_f32_e32 v22, v18, v15
	v_rcp_f32_e32 v35, v29
	v_mul_f32_e32 v27, v34, v27
	v_fma_f32 v21, -v31, v30, v21
	s_mov_b64 vcc, s[2:3]
	v_div_scale_f32 v34, s[12:13], v22, v22, v27
	v_div_fmas_f32 v21, v21, v25, v30
	v_fma_f32 v25, -v29, v35, 1.0
	v_fmac_f32_e32 v35, v25, v35
	v_mul_f32_e32 v25, v32, v35
	v_fma_f32 v30, -v29, v25, v32
	v_fmac_f32_e32 v25, v30, v35
	v_fma_f32 v29, -v29, v25, v32
	s_mov_b64 vcc, s[0:1]
	v_div_fmas_f32 v25, v29, v35, v25
	v_div_scale_f32 v31, vcc, v27, v22, v27
	v_mul_f32_e32 v29, v14, v14
	v_mul_f32_e32 v32, v33, v13
	;; [unrolled: 1-line block ×3, first 2 shown]
	v_fmac_f32_e32 v32, v9, v29
	v_mul_f32_e32 v16, v16, v32
	v_div_scale_f32 v29, s[0:1], v15, v15, v16
	v_mul_f32_e32 v14, v10, v14
	v_rcp_f32_e32 v30, v34
	v_div_scale_f32 v33, s[0:1], v16, v15, v16
	v_mul_f32_e32 v17, 4.0, v17
	s_waitcnt lgkmcnt(1)
	v_fma_f32 v1, v1, v12, -v14
	v_mul_f32_e32 v1, v17, v1
	v_div_scale_f32 v14, s[2:3], v18, v18, v1
	v_fma_f32 v32, -v34, v30, 1.0
	v_fmac_f32_e32 v30, v32, v30
	v_mul_f32_e32 v17, v31, v30
	v_fma_f32 v32, -v34, v17, v31
	v_fmac_f32_e32 v17, v32, v30
	v_div_scale_f32 v32, s[2:3], v1, v18, v1
	v_rcp_f32_e32 v35, v29
	v_fma_f32 v31, -v34, v17, v31
	v_div_fmas_f32 v17, v31, v30, v17
	s_mov_b64 vcc, s[0:1]
	v_fma_f32 v30, -v29, v35, 1.0
	v_fmac_f32_e32 v35, v30, v35
	v_mul_f32_e32 v30, v33, v35
	v_fma_f32 v31, -v29, v30, v33
	v_fmac_f32_e32 v30, v31, v35
	v_rcp_f32_e32 v31, v14
	v_fma_f32 v29, -v29, v30, v33
	v_div_fmas_f32 v29, v29, v35, v30
	s_mov_b64 vcc, s[2:3]
	v_fma_f32 v30, -v14, v31, 1.0
	v_fmac_f32_e32 v31, v30, v31
	v_mul_f32_e32 v30, v32, v31
	v_fma_f32 v33, -v14, v30, v32
	v_fmac_f32_e32 v30, v33, v31
	v_fma_f32 v14, -v14, v30, v32
	v_div_fmas_f32 v14, v14, v31, v30
	s_waitcnt lgkmcnt(0)
	v_add_f32_e32 v8, v11, v8
	v_div_fixup_f32 v11, v17, v22, v27
	v_add_f32_e32 v10, v10, v12
	v_div_fixup_f32 v12, v21, v15, v26
	;; [unrolled: 2-line block ×4, first 2 shown]
	v_div_fixup_f32 v13, v24, v18, v23
	v_add_f32_e32 v10, v10, v12
	v_div_fixup_f32 v12, v25, v18, v28
	v_add_f32_e32 v8, v11, v8
	v_add_f32_e32 v4, v4, v19
	;; [unrolled: 1-line block ×4, first 2 shown]
	v_div_fixup_f32 v1, v14, v18, v1
	v_add_f32_e32 v11, v1, v8
	v_mov_b32_e32 v1, v18
.LBB13_68:
	s_or_b64 exec, exec, s[8:9]
	v_cmp_gt_u32_e32 vcc, 60, v6
	s_waitcnt lgkmcnt(0)
	v_cndmask_b32_e64 v8, 0, 4, vcc
	v_add_lshl_u32 v8, v8, v5, 2
	ds_bpermute_b32 v14, v8, v1
	ds_bpermute_b32 v16, v8, v2
	;; [unrolled: 1-line block ×7, first 2 shown]
	v_add_u32_e32 v18, 4, v6
	v_cmp_lt_u32_e32 vcc, v18, v7
	s_and_saveexec_b64 s[8:9], vcc
	s_cbranch_execz .LBB13_70
; %bb.69:
	s_waitcnt lgkmcnt(3)
	v_sub_f32_e32 v17, v17, v4
	v_add_f32_e32 v18, v1, v14
	v_mul_f32_e32 v19, v17, v14
	v_div_scale_f32 v20, s[0:1], v18, v18, v19
	v_cmp_gt_f32_e64 s[0:1], v2, v16
	v_cndmask_b32_e64 v2, v2, v16, s[0:1]
	v_mul_f32_e32 v16, v17, v17
	v_div_scale_f32 v21, vcc, v19, v18, v19
	v_mul_f32_e32 v23, v1, v16
	v_cmp_lt_f32_e64 s[0:1], v3, v15
	v_mul_f32_e32 v23, v23, v14
	v_cndmask_b32_e64 v3, v3, v15, s[0:1]
	v_div_scale_f32 v25, s[0:1], v18, v18, v23
	v_div_scale_f32 v30, s[0:1], v23, v18, v23
	v_mul_f32_e32 v26, v17, v16
	v_rcp_f32_e32 v24, v20
	v_mul_f32_e32 v27, v17, v26
	v_mul_f32_e32 v26, v1, v26
	;; [unrolled: 1-line block ×3, first 2 shown]
	v_fma_f32 v28, -v20, v24, 1.0
	v_fmac_f32_e32 v24, v28, v24
	v_mul_f32_e32 v28, v21, v24
	v_fma_f32 v29, -v20, v28, v21
	v_fmac_f32_e32 v28, v29, v24
	v_sub_f32_e32 v31, v1, v14
	v_mul_f32_e32 v15, v18, v18
	v_rcp_f32_e32 v29, v25
	v_mul_f32_e32 v26, v31, v26
	v_fma_f32 v20, -v20, v28, v21
	v_div_scale_f32 v31, s[2:3], v15, v15, v26
	v_fma_f32 v21, -v25, v29, 1.0
	v_fmac_f32_e32 v29, v21, v29
	v_div_fmas_f32 v20, v20, v24, v28
	v_mul_f32_e32 v24, v30, v29
	v_fma_f32 v28, -v25, v24, v30
	v_fmac_f32_e32 v24, v28, v29
	v_fma_f32 v25, -v25, v24, v30
	s_mov_b64 vcc, s[0:1]
	v_div_fmas_f32 v24, v25, v29, v24
	v_mul_f32_e32 v29, v9, v14
	v_div_scale_f32 v21, s[2:3], v26, v15, v26
	v_mul_f32_e32 v28, 0x40400000, v17
	s_waitcnt lgkmcnt(2)
	v_fma_f32 v29, v1, v13, -v29
	v_mul_f32_e32 v28, v28, v29
	v_div_scale_f32 v29, s[0:1], v18, v18, v28
	v_div_scale_f32 v32, s[0:1], v28, v18, v28
	v_rcp_f32_e32 v25, v31
	v_mul_f32_e32 v33, v1, v1
	v_mul_f32_e32 v27, v1, v27
	v_fma_f32 v34, -v1, v14, v33
	v_fma_f32 v30, -v31, v25, 1.0
	v_fmac_f32_e32 v25, v30, v25
	v_mul_f32_e32 v27, v27, v14
	v_mul_f32_e32 v30, v21, v25
	v_fma_f32 v35, -v31, v30, v21
	v_fmac_f32_e32 v30, v35, v25
	v_fmac_f32_e32 v34, v14, v14
	v_mul_f32_e32 v22, v18, v15
	v_rcp_f32_e32 v35, v29
	v_mul_f32_e32 v27, v34, v27
	v_fma_f32 v21, -v31, v30, v21
	s_mov_b64 vcc, s[2:3]
	v_div_scale_f32 v34, s[12:13], v22, v22, v27
	v_div_fmas_f32 v21, v21, v25, v30
	v_fma_f32 v25, -v29, v35, 1.0
	v_fmac_f32_e32 v35, v25, v35
	v_mul_f32_e32 v25, v32, v35
	v_fma_f32 v30, -v29, v25, v32
	v_fmac_f32_e32 v25, v30, v35
	v_fma_f32 v29, -v29, v25, v32
	s_mov_b64 vcc, s[0:1]
	v_div_fmas_f32 v25, v29, v35, v25
	v_div_scale_f32 v31, vcc, v27, v22, v27
	v_mul_f32_e32 v29, v14, v14
	v_mul_f32_e32 v32, v33, v13
	v_mul_f32_e32 v16, 0x40c00000, v16
	v_fmac_f32_e32 v32, v9, v29
	v_mul_f32_e32 v16, v16, v32
	v_div_scale_f32 v29, s[0:1], v15, v15, v16
	v_mul_f32_e32 v14, v10, v14
	v_rcp_f32_e32 v30, v34
	v_div_scale_f32 v33, s[0:1], v16, v15, v16
	v_mul_f32_e32 v17, 4.0, v17
	s_waitcnt lgkmcnt(1)
	v_fma_f32 v1, v1, v12, -v14
	v_mul_f32_e32 v1, v17, v1
	v_div_scale_f32 v14, s[2:3], v18, v18, v1
	v_fma_f32 v32, -v34, v30, 1.0
	v_fmac_f32_e32 v30, v32, v30
	v_mul_f32_e32 v17, v31, v30
	v_fma_f32 v32, -v34, v17, v31
	v_fmac_f32_e32 v17, v32, v30
	v_div_scale_f32 v32, s[2:3], v1, v18, v1
	v_rcp_f32_e32 v35, v29
	v_fma_f32 v31, -v34, v17, v31
	v_div_fmas_f32 v17, v31, v30, v17
	s_mov_b64 vcc, s[0:1]
	v_fma_f32 v30, -v29, v35, 1.0
	v_fmac_f32_e32 v35, v30, v35
	v_mul_f32_e32 v30, v33, v35
	v_fma_f32 v31, -v29, v30, v33
	v_fmac_f32_e32 v30, v31, v35
	v_rcp_f32_e32 v31, v14
	v_fma_f32 v29, -v29, v30, v33
	v_div_fmas_f32 v29, v29, v35, v30
	s_mov_b64 vcc, s[2:3]
	v_fma_f32 v30, -v14, v31, 1.0
	v_fmac_f32_e32 v31, v30, v31
	v_mul_f32_e32 v30, v32, v31
	v_fma_f32 v33, -v14, v30, v32
	v_fmac_f32_e32 v30, v33, v31
	v_fma_f32 v14, -v14, v30, v32
	v_div_fmas_f32 v14, v14, v31, v30
	s_waitcnt lgkmcnt(0)
	v_add_f32_e32 v8, v11, v8
	v_div_fixup_f32 v11, v17, v22, v27
	v_add_f32_e32 v10, v10, v12
	v_div_fixup_f32 v12, v21, v15, v26
	;; [unrolled: 2-line block ×4, first 2 shown]
	v_div_fixup_f32 v13, v24, v18, v23
	v_add_f32_e32 v10, v10, v12
	v_div_fixup_f32 v12, v25, v18, v28
	v_add_f32_e32 v8, v11, v8
	v_add_f32_e32 v4, v4, v19
	;; [unrolled: 1-line block ×4, first 2 shown]
	v_div_fixup_f32 v1, v14, v18, v1
	v_add_f32_e32 v11, v1, v8
	v_mov_b32_e32 v1, v18
.LBB13_70:
	s_or_b64 exec, exec, s[8:9]
	v_cmp_gt_u32_e32 vcc, 56, v6
	s_waitcnt lgkmcnt(0)
	v_cndmask_b32_e64 v8, 0, 8, vcc
	v_add_lshl_u32 v8, v8, v5, 2
	ds_bpermute_b32 v14, v8, v1
	ds_bpermute_b32 v16, v8, v2
	ds_bpermute_b32 v15, v8, v3
	ds_bpermute_b32 v17, v8, v4
	ds_bpermute_b32 v13, v8, v9
	ds_bpermute_b32 v12, v8, v10
	ds_bpermute_b32 v8, v8, v11
	v_add_u32_e32 v18, 8, v6
	v_cmp_lt_u32_e32 vcc, v18, v7
	s_and_saveexec_b64 s[8:9], vcc
	s_cbranch_execz .LBB13_72
; %bb.71:
	s_waitcnt lgkmcnt(3)
	v_sub_f32_e32 v17, v17, v4
	v_add_f32_e32 v18, v1, v14
	v_mul_f32_e32 v19, v17, v14
	v_div_scale_f32 v20, s[0:1], v18, v18, v19
	v_cmp_gt_f32_e64 s[0:1], v2, v16
	v_cndmask_b32_e64 v2, v2, v16, s[0:1]
	v_mul_f32_e32 v16, v17, v17
	v_div_scale_f32 v21, vcc, v19, v18, v19
	v_mul_f32_e32 v23, v1, v16
	v_cmp_lt_f32_e64 s[0:1], v3, v15
	v_mul_f32_e32 v23, v23, v14
	v_cndmask_b32_e64 v3, v3, v15, s[0:1]
	v_div_scale_f32 v25, s[0:1], v18, v18, v23
	v_div_scale_f32 v30, s[0:1], v23, v18, v23
	v_mul_f32_e32 v26, v17, v16
	v_rcp_f32_e32 v24, v20
	v_mul_f32_e32 v27, v17, v26
	v_mul_f32_e32 v26, v1, v26
	;; [unrolled: 1-line block ×3, first 2 shown]
	v_fma_f32 v28, -v20, v24, 1.0
	v_fmac_f32_e32 v24, v28, v24
	v_mul_f32_e32 v28, v21, v24
	v_fma_f32 v29, -v20, v28, v21
	v_fmac_f32_e32 v28, v29, v24
	v_sub_f32_e32 v31, v1, v14
	v_mul_f32_e32 v15, v18, v18
	v_rcp_f32_e32 v29, v25
	v_mul_f32_e32 v26, v31, v26
	v_fma_f32 v20, -v20, v28, v21
	v_div_scale_f32 v31, s[2:3], v15, v15, v26
	v_fma_f32 v21, -v25, v29, 1.0
	v_fmac_f32_e32 v29, v21, v29
	v_div_fmas_f32 v20, v20, v24, v28
	v_mul_f32_e32 v24, v30, v29
	v_fma_f32 v28, -v25, v24, v30
	v_fmac_f32_e32 v24, v28, v29
	v_fma_f32 v25, -v25, v24, v30
	s_mov_b64 vcc, s[0:1]
	v_div_fmas_f32 v24, v25, v29, v24
	v_mul_f32_e32 v29, v9, v14
	v_div_scale_f32 v21, s[2:3], v26, v15, v26
	v_mul_f32_e32 v28, 0x40400000, v17
	s_waitcnt lgkmcnt(2)
	v_fma_f32 v29, v1, v13, -v29
	v_mul_f32_e32 v28, v28, v29
	v_div_scale_f32 v29, s[0:1], v18, v18, v28
	v_div_scale_f32 v32, s[0:1], v28, v18, v28
	v_rcp_f32_e32 v25, v31
	v_mul_f32_e32 v33, v1, v1
	v_mul_f32_e32 v27, v1, v27
	v_fma_f32 v34, -v1, v14, v33
	v_fma_f32 v30, -v31, v25, 1.0
	v_fmac_f32_e32 v25, v30, v25
	v_mul_f32_e32 v27, v27, v14
	v_mul_f32_e32 v30, v21, v25
	v_fma_f32 v35, -v31, v30, v21
	v_fmac_f32_e32 v30, v35, v25
	v_fmac_f32_e32 v34, v14, v14
	v_mul_f32_e32 v22, v18, v15
	v_rcp_f32_e32 v35, v29
	v_mul_f32_e32 v27, v34, v27
	v_fma_f32 v21, -v31, v30, v21
	s_mov_b64 vcc, s[2:3]
	v_div_scale_f32 v34, s[12:13], v22, v22, v27
	v_div_fmas_f32 v21, v21, v25, v30
	v_fma_f32 v25, -v29, v35, 1.0
	v_fmac_f32_e32 v35, v25, v35
	v_mul_f32_e32 v25, v32, v35
	v_fma_f32 v30, -v29, v25, v32
	v_fmac_f32_e32 v25, v30, v35
	v_fma_f32 v29, -v29, v25, v32
	s_mov_b64 vcc, s[0:1]
	v_div_fmas_f32 v25, v29, v35, v25
	v_div_scale_f32 v31, vcc, v27, v22, v27
	v_mul_f32_e32 v29, v14, v14
	v_mul_f32_e32 v32, v33, v13
	;; [unrolled: 1-line block ×3, first 2 shown]
	v_fmac_f32_e32 v32, v9, v29
	v_mul_f32_e32 v16, v16, v32
	v_div_scale_f32 v29, s[0:1], v15, v15, v16
	v_mul_f32_e32 v14, v10, v14
	v_rcp_f32_e32 v30, v34
	v_div_scale_f32 v33, s[0:1], v16, v15, v16
	v_mul_f32_e32 v17, 4.0, v17
	s_waitcnt lgkmcnt(1)
	v_fma_f32 v1, v1, v12, -v14
	v_mul_f32_e32 v1, v17, v1
	v_div_scale_f32 v14, s[2:3], v18, v18, v1
	v_fma_f32 v32, -v34, v30, 1.0
	v_fmac_f32_e32 v30, v32, v30
	v_mul_f32_e32 v17, v31, v30
	v_fma_f32 v32, -v34, v17, v31
	v_fmac_f32_e32 v17, v32, v30
	v_div_scale_f32 v32, s[2:3], v1, v18, v1
	v_rcp_f32_e32 v35, v29
	v_fma_f32 v31, -v34, v17, v31
	v_div_fmas_f32 v17, v31, v30, v17
	s_mov_b64 vcc, s[0:1]
	v_fma_f32 v30, -v29, v35, 1.0
	v_fmac_f32_e32 v35, v30, v35
	v_mul_f32_e32 v30, v33, v35
	v_fma_f32 v31, -v29, v30, v33
	v_fmac_f32_e32 v30, v31, v35
	v_rcp_f32_e32 v31, v14
	v_fma_f32 v29, -v29, v30, v33
	v_div_fmas_f32 v29, v29, v35, v30
	s_mov_b64 vcc, s[2:3]
	v_fma_f32 v30, -v14, v31, 1.0
	v_fmac_f32_e32 v31, v30, v31
	v_mul_f32_e32 v30, v32, v31
	v_fma_f32 v33, -v14, v30, v32
	v_fmac_f32_e32 v30, v33, v31
	v_fma_f32 v14, -v14, v30, v32
	v_div_fmas_f32 v14, v14, v31, v30
	s_waitcnt lgkmcnt(0)
	v_add_f32_e32 v8, v11, v8
	v_div_fixup_f32 v11, v17, v22, v27
	v_add_f32_e32 v10, v10, v12
	v_div_fixup_f32 v12, v21, v15, v26
	;; [unrolled: 2-line block ×4, first 2 shown]
	v_div_fixup_f32 v13, v24, v18, v23
	v_add_f32_e32 v10, v10, v12
	v_div_fixup_f32 v12, v25, v18, v28
	v_add_f32_e32 v8, v11, v8
	v_add_f32_e32 v4, v4, v19
	;; [unrolled: 1-line block ×4, first 2 shown]
	v_div_fixup_f32 v1, v14, v18, v1
	v_add_f32_e32 v11, v1, v8
	v_mov_b32_e32 v1, v18
.LBB13_72:
	s_or_b64 exec, exec, s[8:9]
	v_cmp_gt_u32_e32 vcc, 48, v6
	s_waitcnt lgkmcnt(0)
	v_cndmask_b32_e64 v8, 0, 16, vcc
	v_add_lshl_u32 v8, v8, v5, 2
	ds_bpermute_b32 v14, v8, v1
	ds_bpermute_b32 v16, v8, v2
	;; [unrolled: 1-line block ×7, first 2 shown]
	v_add_u32_e32 v18, 16, v6
	v_cmp_lt_u32_e32 vcc, v18, v7
	s_and_saveexec_b64 s[8:9], vcc
	s_cbranch_execz .LBB13_74
; %bb.73:
	s_waitcnt lgkmcnt(3)
	v_sub_f32_e32 v17, v17, v4
	v_add_f32_e32 v18, v1, v14
	v_mul_f32_e32 v19, v17, v14
	v_div_scale_f32 v20, s[0:1], v18, v18, v19
	v_cmp_gt_f32_e64 s[0:1], v2, v16
	v_cndmask_b32_e64 v2, v2, v16, s[0:1]
	v_mul_f32_e32 v16, v17, v17
	v_div_scale_f32 v21, vcc, v19, v18, v19
	v_mul_f32_e32 v23, v1, v16
	v_cmp_lt_f32_e64 s[0:1], v3, v15
	v_mul_f32_e32 v23, v23, v14
	v_cndmask_b32_e64 v3, v3, v15, s[0:1]
	v_div_scale_f32 v25, s[0:1], v18, v18, v23
	v_div_scale_f32 v30, s[0:1], v23, v18, v23
	v_mul_f32_e32 v26, v17, v16
	v_rcp_f32_e32 v24, v20
	v_mul_f32_e32 v27, v17, v26
	v_mul_f32_e32 v26, v1, v26
	;; [unrolled: 1-line block ×3, first 2 shown]
	v_fma_f32 v28, -v20, v24, 1.0
	v_fmac_f32_e32 v24, v28, v24
	v_mul_f32_e32 v28, v21, v24
	v_fma_f32 v29, -v20, v28, v21
	v_fmac_f32_e32 v28, v29, v24
	v_sub_f32_e32 v31, v1, v14
	v_mul_f32_e32 v15, v18, v18
	v_rcp_f32_e32 v29, v25
	v_mul_f32_e32 v26, v31, v26
	v_fma_f32 v20, -v20, v28, v21
	v_div_scale_f32 v31, s[2:3], v15, v15, v26
	v_fma_f32 v21, -v25, v29, 1.0
	v_fmac_f32_e32 v29, v21, v29
	v_div_fmas_f32 v20, v20, v24, v28
	v_mul_f32_e32 v24, v30, v29
	v_fma_f32 v28, -v25, v24, v30
	v_fmac_f32_e32 v24, v28, v29
	v_fma_f32 v25, -v25, v24, v30
	s_mov_b64 vcc, s[0:1]
	v_div_fmas_f32 v24, v25, v29, v24
	v_mul_f32_e32 v29, v9, v14
	v_div_scale_f32 v21, s[2:3], v26, v15, v26
	v_mul_f32_e32 v28, 0x40400000, v17
	s_waitcnt lgkmcnt(2)
	v_fma_f32 v29, v1, v13, -v29
	v_mul_f32_e32 v28, v28, v29
	v_div_scale_f32 v29, s[0:1], v18, v18, v28
	v_div_scale_f32 v32, s[0:1], v28, v18, v28
	v_rcp_f32_e32 v25, v31
	v_mul_f32_e32 v33, v1, v1
	v_mul_f32_e32 v27, v1, v27
	v_fma_f32 v34, -v1, v14, v33
	v_fma_f32 v30, -v31, v25, 1.0
	v_fmac_f32_e32 v25, v30, v25
	v_mul_f32_e32 v27, v27, v14
	v_mul_f32_e32 v30, v21, v25
	v_fma_f32 v35, -v31, v30, v21
	v_fmac_f32_e32 v30, v35, v25
	v_fmac_f32_e32 v34, v14, v14
	v_mul_f32_e32 v22, v18, v15
	v_rcp_f32_e32 v35, v29
	v_mul_f32_e32 v27, v34, v27
	v_fma_f32 v21, -v31, v30, v21
	s_mov_b64 vcc, s[2:3]
	v_div_scale_f32 v34, s[12:13], v22, v22, v27
	v_div_fmas_f32 v21, v21, v25, v30
	v_fma_f32 v25, -v29, v35, 1.0
	v_fmac_f32_e32 v35, v25, v35
	v_mul_f32_e32 v25, v32, v35
	v_fma_f32 v30, -v29, v25, v32
	v_fmac_f32_e32 v25, v30, v35
	v_fma_f32 v29, -v29, v25, v32
	s_mov_b64 vcc, s[0:1]
	v_div_fmas_f32 v25, v29, v35, v25
	v_div_scale_f32 v31, vcc, v27, v22, v27
	v_mul_f32_e32 v29, v14, v14
	v_mul_f32_e32 v32, v33, v13
	;; [unrolled: 1-line block ×3, first 2 shown]
	v_fmac_f32_e32 v32, v9, v29
	v_mul_f32_e32 v16, v16, v32
	v_div_scale_f32 v29, s[0:1], v15, v15, v16
	v_mul_f32_e32 v14, v10, v14
	v_rcp_f32_e32 v30, v34
	v_div_scale_f32 v33, s[0:1], v16, v15, v16
	v_mul_f32_e32 v17, 4.0, v17
	s_waitcnt lgkmcnt(1)
	v_fma_f32 v1, v1, v12, -v14
	v_mul_f32_e32 v1, v17, v1
	v_div_scale_f32 v14, s[2:3], v18, v18, v1
	v_fma_f32 v32, -v34, v30, 1.0
	v_fmac_f32_e32 v30, v32, v30
	v_mul_f32_e32 v17, v31, v30
	v_fma_f32 v32, -v34, v17, v31
	v_fmac_f32_e32 v17, v32, v30
	v_div_scale_f32 v32, s[2:3], v1, v18, v1
	v_rcp_f32_e32 v35, v29
	v_fma_f32 v31, -v34, v17, v31
	v_div_fmas_f32 v17, v31, v30, v17
	s_mov_b64 vcc, s[0:1]
	v_fma_f32 v30, -v29, v35, 1.0
	v_fmac_f32_e32 v35, v30, v35
	v_mul_f32_e32 v30, v33, v35
	v_fma_f32 v31, -v29, v30, v33
	v_fmac_f32_e32 v30, v31, v35
	v_rcp_f32_e32 v31, v14
	v_fma_f32 v29, -v29, v30, v33
	v_div_fmas_f32 v29, v29, v35, v30
	s_mov_b64 vcc, s[2:3]
	v_fma_f32 v30, -v14, v31, 1.0
	v_fmac_f32_e32 v31, v30, v31
	v_mul_f32_e32 v30, v32, v31
	v_fma_f32 v33, -v14, v30, v32
	v_fmac_f32_e32 v30, v33, v31
	v_fma_f32 v14, -v14, v30, v32
	v_div_fmas_f32 v14, v14, v31, v30
	s_waitcnt lgkmcnt(0)
	v_add_f32_e32 v8, v11, v8
	v_div_fixup_f32 v11, v17, v22, v27
	v_add_f32_e32 v10, v10, v12
	v_div_fixup_f32 v12, v21, v15, v26
	;; [unrolled: 2-line block ×4, first 2 shown]
	v_div_fixup_f32 v13, v24, v18, v23
	v_add_f32_e32 v10, v10, v12
	v_div_fixup_f32 v12, v25, v18, v28
	v_add_f32_e32 v8, v11, v8
	v_add_f32_e32 v4, v4, v19
	;; [unrolled: 1-line block ×4, first 2 shown]
	v_div_fixup_f32 v1, v14, v18, v1
	v_add_f32_e32 v11, v1, v8
	v_mov_b32_e32 v1, v18
.LBB13_74:
	s_or_b64 exec, exec, s[8:9]
	s_waitcnt lgkmcnt(0)
	v_lshlrev_b32_e32 v8, 2, v5
	v_or_b32_e32 v12, 0x80, v8
	ds_bpermute_b32 v15, v12, v1
	ds_bpermute_b32 v17, v12, v2
	;; [unrolled: 1-line block ×7, first 2 shown]
	v_add_u32_e32 v6, 32, v6
	v_cmp_lt_u32_e32 vcc, v6, v7
	s_and_saveexec_b64 s[8:9], vcc
	s_cbranch_execz .LBB13_76
; %bb.75:
	s_waitcnt lgkmcnt(3)
	v_sub_f32_e32 v7, v18, v4
	v_add_f32_e32 v6, v1, v15
	v_mul_f32_e32 v18, v7, v15
	v_div_scale_f32 v19, s[0:1], v6, v6, v18
	v_cmp_gt_f32_e64 s[0:1], v2, v17
	v_cndmask_b32_e64 v2, v2, v17, s[0:1]
	v_mul_f32_e32 v17, v7, v7
	v_div_scale_f32 v20, vcc, v18, v6, v18
	v_mul_f32_e32 v22, v1, v17
	v_cmp_lt_f32_e64 s[0:1], v3, v16
	v_mul_f32_e32 v22, v22, v15
	v_cndmask_b32_e64 v3, v3, v16, s[0:1]
	v_div_scale_f32 v24, s[0:1], v6, v6, v22
	v_div_scale_f32 v29, s[0:1], v22, v6, v22
	v_mul_f32_e32 v25, v7, v17
	v_rcp_f32_e32 v23, v19
	v_mul_f32_e32 v26, v7, v25
	v_mul_f32_e32 v25, v1, v25
	;; [unrolled: 1-line block ×3, first 2 shown]
	v_fma_f32 v27, -v19, v23, 1.0
	v_fmac_f32_e32 v23, v27, v23
	v_mul_f32_e32 v27, v20, v23
	v_fma_f32 v28, -v19, v27, v20
	v_fmac_f32_e32 v27, v28, v23
	v_sub_f32_e32 v30, v1, v15
	v_mul_f32_e32 v16, v6, v6
	v_rcp_f32_e32 v28, v24
	v_mul_f32_e32 v25, v30, v25
	v_fma_f32 v19, -v19, v27, v20
	v_div_scale_f32 v30, s[2:3], v16, v16, v25
	v_fma_f32 v20, -v24, v28, 1.0
	v_fmac_f32_e32 v28, v20, v28
	v_div_fmas_f32 v19, v19, v23, v27
	v_mul_f32_e32 v23, v29, v28
	v_fma_f32 v27, -v24, v23, v29
	v_fmac_f32_e32 v23, v27, v28
	v_fma_f32 v24, -v24, v23, v29
	s_mov_b64 vcc, s[0:1]
	v_div_fmas_f32 v23, v24, v28, v23
	v_mul_f32_e32 v28, v9, v15
	v_div_scale_f32 v20, s[2:3], v25, v16, v25
	v_mul_f32_e32 v27, 0x40400000, v7
	s_waitcnt lgkmcnt(2)
	v_fma_f32 v28, v1, v14, -v28
	v_mul_f32_e32 v27, v27, v28
	v_div_scale_f32 v28, s[0:1], v6, v6, v27
	v_div_scale_f32 v31, s[0:1], v27, v6, v27
	v_rcp_f32_e32 v24, v30
	v_mul_f32_e32 v32, v1, v1
	v_mul_f32_e32 v26, v1, v26
	v_fma_f32 v33, -v1, v15, v32
	v_fma_f32 v29, -v30, v24, 1.0
	v_fmac_f32_e32 v24, v29, v24
	v_mul_f32_e32 v26, v26, v15
	v_mul_f32_e32 v29, v20, v24
	v_fma_f32 v34, -v30, v29, v20
	v_fmac_f32_e32 v29, v34, v24
	v_fmac_f32_e32 v33, v15, v15
	v_mul_f32_e32 v21, v6, v16
	v_rcp_f32_e32 v34, v28
	v_mul_f32_e32 v26, v33, v26
	v_fma_f32 v20, -v30, v29, v20
	s_mov_b64 vcc, s[2:3]
	v_div_scale_f32 v33, s[12:13], v21, v21, v26
	v_div_fmas_f32 v20, v20, v24, v29
	v_fma_f32 v24, -v28, v34, 1.0
	v_fmac_f32_e32 v34, v24, v34
	v_mul_f32_e32 v24, v31, v34
	v_fma_f32 v29, -v28, v24, v31
	v_fmac_f32_e32 v24, v29, v34
	v_fma_f32 v28, -v28, v24, v31
	s_mov_b64 vcc, s[0:1]
	v_div_fmas_f32 v24, v28, v34, v24
	v_div_scale_f32 v30, vcc, v26, v21, v26
	v_mul_f32_e32 v28, v15, v15
	v_mul_f32_e32 v31, v32, v14
	;; [unrolled: 1-line block ×3, first 2 shown]
	v_fmac_f32_e32 v31, v9, v28
	v_mul_f32_e32 v17, v17, v31
	v_div_scale_f32 v28, s[0:1], v16, v16, v17
	v_mul_f32_e32 v15, v10, v15
	v_rcp_f32_e32 v29, v33
	v_div_scale_f32 v32, s[0:1], v17, v16, v17
	v_mul_f32_e32 v7, 4.0, v7
	s_waitcnt lgkmcnt(1)
	v_fma_f32 v1, v1, v13, -v15
	v_mul_f32_e32 v1, v7, v1
	v_div_scale_f32 v7, s[2:3], v6, v6, v1
	v_fma_f32 v31, -v33, v29, 1.0
	v_fmac_f32_e32 v29, v31, v29
	v_mul_f32_e32 v15, v30, v29
	v_fma_f32 v31, -v33, v15, v30
	v_fmac_f32_e32 v15, v31, v29
	v_div_scale_f32 v31, s[2:3], v1, v6, v1
	v_rcp_f32_e32 v34, v28
	v_fma_f32 v30, -v33, v15, v30
	v_div_fmas_f32 v15, v30, v29, v15
	s_mov_b64 vcc, s[0:1]
	v_fma_f32 v29, -v28, v34, 1.0
	v_fmac_f32_e32 v34, v29, v34
	v_mul_f32_e32 v29, v32, v34
	v_fma_f32 v30, -v28, v29, v32
	v_fmac_f32_e32 v29, v30, v34
	v_rcp_f32_e32 v30, v7
	v_fma_f32 v28, -v28, v29, v32
	v_div_fmas_f32 v28, v28, v34, v29
	s_mov_b64 vcc, s[2:3]
	v_fma_f32 v29, -v7, v30, 1.0
	v_fmac_f32_e32 v30, v29, v30
	v_mul_f32_e32 v29, v31, v30
	v_fma_f32 v32, -v7, v29, v31
	v_fmac_f32_e32 v29, v32, v30
	v_fma_f32 v7, -v7, v29, v31
	v_div_fmas_f32 v7, v7, v30, v29
	s_waitcnt lgkmcnt(0)
	v_add_f32_e32 v11, v11, v12
	v_div_fixup_f32 v12, v15, v21, v26
	v_add_f32_e32 v10, v10, v13
	v_div_fixup_f32 v13, v20, v16, v25
	;; [unrolled: 2-line block ×4, first 2 shown]
	v_div_fixup_f32 v14, v23, v6, v22
	v_add_f32_e32 v10, v10, v13
	v_div_fixup_f32 v13, v24, v6, v27
	v_add_f32_e32 v11, v12, v11
	v_add_f32_e32 v4, v4, v18
	;; [unrolled: 1-line block ×4, first 2 shown]
	v_div_fixup_f32 v1, v7, v6, v1
	v_add_f32_e32 v11, v1, v11
	v_mov_b32_e32 v1, v6
.LBB13_76:
	s_or_b64 exec, exec, s[8:9]
	v_cmp_eq_u32_e32 vcc, 0, v5
	s_and_saveexec_b64 s[0:1], vcc
	s_cbranch_execz .LBB13_78
; %bb.77:
	v_lshrrev_b32_e32 v6, 6, v0
	v_mul_u32_u24_e32 v6, 28, v6
	ds_write2_b32 v6, v1, v2 offset1:1
	ds_write2_b32 v6, v3, v4 offset0:2 offset1:3
	ds_write2_b32 v6, v9, v10 offset0:4 offset1:5
	ds_write_b32 v6, v11 offset:24
.LBB13_78:
	s_or_b64 exec, exec, s[0:1]
	v_cmp_gt_u32_e32 vcc, 4, v0
	s_waitcnt lgkmcnt(0)
	s_barrier
	s_and_saveexec_b64 s[8:9], vcc
	s_cbranch_execz .LBB13_84
; %bb.79:
	v_mul_u32_u24_e32 v6, 28, v5
	ds_read2_b32 v[1:2], v6 offset1:1
	ds_read2_b32 v[3:4], v6 offset0:2 offset1:3
	ds_read2_b32 v[9:10], v6 offset0:4 offset1:5
	ds_read_b32 v11, v6 offset:24
	v_and_b32_e32 v6, 3, v5
	v_cmp_ne_u32_e32 vcc, 3, v6
	v_addc_co_u32_e32 v5, vcc, 0, v5, vcc
	v_lshlrev_b32_e32 v5, 2, v5
	s_waitcnt lgkmcnt(3)
	ds_bpermute_b32 v14, v5, v1
	ds_bpermute_b32 v18, v5, v2
	s_waitcnt lgkmcnt(4)
	ds_bpermute_b32 v17, v5, v3
	ds_bpermute_b32 v19, v5, v4
	;; [unrolled: 3-line block ×3, first 2 shown]
	s_waitcnt lgkmcnt(6)
	ds_bpermute_b32 v7, v5, v11
	s_add_i32 s10, s10, 63
	s_lshr_b32 s12, s10, 6
	v_add_u32_e32 v15, 1, v6
	v_cmp_gt_u32_e32 vcc, s12, v15
	v_mov_b32_e32 v16, v10
	v_mov_b32_e32 v15, v9
	;; [unrolled: 1-line block ×3, first 2 shown]
	s_and_saveexec_b64 s[10:11], vcc
	s_cbranch_execz .LBB13_81
; %bb.80:
	s_waitcnt lgkmcnt(3)
	v_sub_f32_e32 v15, v19, v4
	v_add_f32_e32 v5, v1, v14
	v_mul_f32_e32 v16, v15, v14
	v_div_scale_f32 v19, s[0:1], v5, v5, v16
	v_cmp_gt_f32_e64 s[0:1], v2, v18
	v_cndmask_b32_e64 v2, v2, v18, s[0:1]
	v_mul_f32_e32 v18, v15, v15
	v_div_scale_f32 v20, vcc, v16, v5, v16
	v_mul_f32_e32 v22, v1, v18
	v_cmp_lt_f32_e64 s[0:1], v3, v17
	v_mul_f32_e32 v22, v22, v14
	v_cndmask_b32_e64 v3, v3, v17, s[0:1]
	v_div_scale_f32 v24, s[0:1], v5, v5, v22
	v_div_scale_f32 v29, s[0:1], v22, v5, v22
	v_mul_f32_e32 v25, v15, v18
	v_rcp_f32_e32 v23, v19
	v_mul_f32_e32 v26, v15, v25
	v_mul_f32_e32 v25, v1, v25
	;; [unrolled: 1-line block ×3, first 2 shown]
	v_fma_f32 v27, -v19, v23, 1.0
	v_fmac_f32_e32 v23, v27, v23
	v_mul_f32_e32 v27, v20, v23
	v_fma_f32 v28, -v19, v27, v20
	v_fmac_f32_e32 v27, v28, v23
	v_sub_f32_e32 v30, v1, v14
	v_mul_f32_e32 v17, v5, v5
	v_rcp_f32_e32 v28, v24
	v_mul_f32_e32 v25, v30, v25
	v_fma_f32 v19, -v19, v27, v20
	v_div_scale_f32 v30, s[2:3], v17, v17, v25
	v_fma_f32 v20, -v24, v28, 1.0
	v_fmac_f32_e32 v28, v20, v28
	v_div_fmas_f32 v19, v19, v23, v27
	v_mul_f32_e32 v23, v29, v28
	v_fma_f32 v27, -v24, v23, v29
	v_fmac_f32_e32 v23, v27, v28
	v_fma_f32 v24, -v24, v23, v29
	s_mov_b64 vcc, s[0:1]
	v_div_fmas_f32 v23, v24, v28, v23
	v_mul_f32_e32 v28, v9, v14
	v_div_scale_f32 v20, s[2:3], v25, v17, v25
	v_mul_f32_e32 v27, 0x40400000, v15
	s_waitcnt lgkmcnt(2)
	v_fma_f32 v28, v1, v13, -v28
	v_mul_f32_e32 v27, v27, v28
	v_div_scale_f32 v28, s[0:1], v5, v5, v27
	v_div_scale_f32 v31, s[0:1], v27, v5, v27
	v_rcp_f32_e32 v24, v30
	v_mul_f32_e32 v32, v1, v1
	v_mul_f32_e32 v26, v1, v26
	v_fma_f32 v33, -v1, v14, v32
	v_fma_f32 v29, -v30, v24, 1.0
	v_fmac_f32_e32 v24, v29, v24
	v_mul_f32_e32 v26, v26, v14
	v_mul_f32_e32 v29, v20, v24
	v_fma_f32 v34, -v30, v29, v20
	v_fmac_f32_e32 v29, v34, v24
	v_fmac_f32_e32 v33, v14, v14
	v_mul_f32_e32 v21, v5, v17
	v_rcp_f32_e32 v34, v28
	v_mul_f32_e32 v26, v33, v26
	v_fma_f32 v20, -v30, v29, v20
	s_mov_b64 vcc, s[2:3]
	v_div_scale_f32 v33, s[14:15], v21, v21, v26
	v_div_fmas_f32 v20, v20, v24, v29
	v_fma_f32 v24, -v28, v34, 1.0
	v_fmac_f32_e32 v34, v24, v34
	v_mul_f32_e32 v24, v31, v34
	v_fma_f32 v29, -v28, v24, v31
	v_fmac_f32_e32 v24, v29, v34
	v_fma_f32 v28, -v28, v24, v31
	s_mov_b64 vcc, s[0:1]
	v_div_fmas_f32 v24, v28, v34, v24
	v_div_scale_f32 v30, vcc, v26, v21, v26
	v_mul_f32_e32 v28, v14, v14
	v_mul_f32_e32 v31, v32, v13
	;; [unrolled: 1-line block ×3, first 2 shown]
	v_fmac_f32_e32 v31, v9, v28
	v_mul_f32_e32 v18, v18, v31
	v_div_scale_f32 v28, s[0:1], v17, v17, v18
	v_mul_f32_e32 v14, v10, v14
	v_rcp_f32_e32 v29, v33
	v_div_scale_f32 v32, s[0:1], v18, v17, v18
	v_mul_f32_e32 v15, 4.0, v15
	s_waitcnt lgkmcnt(1)
	v_fma_f32 v1, v1, v12, -v14
	v_mul_f32_e32 v1, v15, v1
	v_div_scale_f32 v14, s[2:3], v5, v5, v1
	v_fma_f32 v31, -v33, v29, 1.0
	v_fmac_f32_e32 v29, v31, v29
	v_mul_f32_e32 v15, v30, v29
	v_fma_f32 v31, -v33, v15, v30
	v_fmac_f32_e32 v15, v31, v29
	v_div_scale_f32 v31, s[2:3], v1, v5, v1
	v_rcp_f32_e32 v34, v28
	v_fma_f32 v30, -v33, v15, v30
	v_div_fmas_f32 v29, v30, v29, v15
	s_mov_b64 vcc, s[0:1]
	v_fma_f32 v15, -v28, v34, 1.0
	v_fmac_f32_e32 v34, v15, v34
	v_mul_f32_e32 v15, v32, v34
	v_fma_f32 v30, -v28, v15, v32
	v_fmac_f32_e32 v15, v30, v34
	v_rcp_f32_e32 v30, v14
	v_fma_f32 v28, -v28, v15, v32
	v_div_fmas_f32 v28, v28, v34, v15
	s_mov_b64 vcc, s[2:3]
	v_fma_f32 v15, -v14, v30, 1.0
	v_fmac_f32_e32 v30, v15, v30
	v_mul_f32_e32 v15, v31, v30
	v_fma_f32 v32, -v14, v15, v31
	v_fmac_f32_e32 v15, v32, v30
	v_fma_f32 v14, -v14, v15, v31
	v_div_fmas_f32 v14, v14, v30, v15
	v_div_fixup_f32 v15, v19, v5, v16
	v_add_f32_e32 v9, v9, v13
	v_div_fixup_f32 v13, v23, v5, v22
	v_add_f32_e32 v4, v4, v15
	v_add_f32_e32 v15, v9, v13
	;; [unrolled: 1-line block ×3, first 2 shown]
	v_div_fixup_f32 v10, v20, v17, v25
	v_add_f32_e32 v9, v9, v10
	v_div_fixup_f32 v10, v24, v5, v27
	v_add_f32_e32 v16, v10, v9
	s_waitcnt lgkmcnt(0)
	v_add_f32_e32 v7, v11, v7
	v_div_fixup_f32 v9, v29, v21, v26
	v_add_f32_e32 v7, v7, v9
	v_div_fixup_f32 v9, v28, v17, v18
	;; [unrolled: 2-line block ×3, first 2 shown]
	v_add_f32_e32 v11, v1, v7
	v_mov_b32_e32 v10, v16
	v_mov_b32_e32 v9, v15
	v_mov_b32_e32 v1, v5
.LBB13_81:
	s_or_b64 exec, exec, s[10:11]
	s_waitcnt lgkmcnt(5)
	v_or_b32_e32 v18, 8, v8
	s_waitcnt lgkmcnt(1)
	ds_bpermute_b32 v12, v18, v5
	ds_bpermute_b32 v14, v18, v2
	;; [unrolled: 1-line block ×5, first 2 shown]
	s_waitcnt lgkmcnt(5)
	ds_bpermute_b32 v7, v18, v16
	ds_bpermute_b32 v5, v18, v11
	v_add_u32_e32 v6, 2, v6
	v_cmp_gt_u32_e32 vcc, s12, v6
	s_and_saveexec_b64 s[10:11], vcc
	s_cbranch_execz .LBB13_83
; %bb.82:
	s_waitcnt lgkmcnt(3)
	v_sub_f32_e32 v15, v17, v4
	v_add_f32_e32 v6, v1, v12
	v_mul_f32_e32 v16, v15, v12
	v_div_scale_f32 v17, s[0:1], v6, v6, v16
	v_cmp_gt_f32_e64 s[0:1], v2, v14
	v_cndmask_b32_e64 v2, v2, v14, s[0:1]
	v_mul_f32_e32 v14, v15, v15
	v_div_scale_f32 v18, vcc, v16, v6, v16
	v_mul_f32_e32 v20, v1, v14
	v_cmp_lt_f32_e64 s[0:1], v3, v13
	v_mul_f32_e32 v20, v20, v12
	v_cndmask_b32_e64 v3, v3, v13, s[0:1]
	v_div_scale_f32 v22, s[0:1], v6, v6, v20
	v_div_scale_f32 v27, s[0:1], v20, v6, v20
	v_mul_f32_e32 v23, v15, v14
	v_rcp_f32_e32 v21, v17
	v_mul_f32_e32 v24, v15, v23
	v_mul_f32_e32 v23, v1, v23
	;; [unrolled: 1-line block ×3, first 2 shown]
	v_fma_f32 v25, -v17, v21, 1.0
	v_fmac_f32_e32 v21, v25, v21
	v_mul_f32_e32 v25, v18, v21
	v_fma_f32 v26, -v17, v25, v18
	v_fmac_f32_e32 v25, v26, v21
	v_sub_f32_e32 v28, v1, v12
	v_mul_f32_e32 v13, v6, v6
	v_rcp_f32_e32 v26, v22
	v_mul_f32_e32 v23, v28, v23
	v_fma_f32 v17, -v17, v25, v18
	v_div_scale_f32 v28, s[2:3], v13, v13, v23
	v_fma_f32 v18, -v22, v26, 1.0
	v_fmac_f32_e32 v26, v18, v26
	v_div_fmas_f32 v17, v17, v21, v25
	v_mul_f32_e32 v21, v27, v26
	v_fma_f32 v25, -v22, v21, v27
	v_fmac_f32_e32 v21, v25, v26
	v_fma_f32 v22, -v22, v21, v27
	s_mov_b64 vcc, s[0:1]
	v_div_fmas_f32 v21, v22, v26, v21
	v_mul_f32_e32 v26, v9, v12
	v_div_scale_f32 v18, s[2:3], v23, v13, v23
	v_mul_f32_e32 v25, 0x40400000, v15
	s_waitcnt lgkmcnt(2)
	v_fma_f32 v26, v1, v8, -v26
	v_mul_f32_e32 v25, v25, v26
	v_div_scale_f32 v26, s[0:1], v6, v6, v25
	v_div_scale_f32 v29, s[0:1], v25, v6, v25
	v_rcp_f32_e32 v22, v28
	v_mul_f32_e32 v30, v1, v1
	v_mul_f32_e32 v24, v1, v24
	v_fma_f32 v31, -v1, v12, v30
	v_fma_f32 v27, -v28, v22, 1.0
	v_fmac_f32_e32 v22, v27, v22
	v_mul_f32_e32 v24, v24, v12
	v_mul_f32_e32 v27, v18, v22
	v_fma_f32 v32, -v28, v27, v18
	v_fmac_f32_e32 v27, v32, v22
	v_fmac_f32_e32 v31, v12, v12
	v_mul_f32_e32 v19, v6, v13
	v_rcp_f32_e32 v32, v26
	v_mul_f32_e32 v24, v31, v24
	v_fma_f32 v18, -v28, v27, v18
	s_mov_b64 vcc, s[2:3]
	v_div_scale_f32 v31, s[12:13], v19, v19, v24
	v_div_fmas_f32 v18, v18, v22, v27
	v_fma_f32 v22, -v26, v32, 1.0
	v_fmac_f32_e32 v32, v22, v32
	v_mul_f32_e32 v22, v29, v32
	v_fma_f32 v27, -v26, v22, v29
	v_fmac_f32_e32 v22, v27, v32
	v_fma_f32 v26, -v26, v22, v29
	s_mov_b64 vcc, s[0:1]
	v_div_fmas_f32 v22, v26, v32, v22
	v_div_scale_f32 v28, vcc, v24, v19, v24
	v_mul_f32_e32 v26, v12, v12
	v_mul_f32_e32 v29, v30, v8
	;; [unrolled: 1-line block ×3, first 2 shown]
	v_fmac_f32_e32 v29, v9, v26
	v_mul_f32_e32 v14, v14, v29
	v_div_scale_f32 v26, s[0:1], v13, v13, v14
	v_mul_f32_e32 v12, v10, v12
	v_rcp_f32_e32 v27, v31
	v_div_scale_f32 v30, s[0:1], v14, v13, v14
	v_mul_f32_e32 v15, 4.0, v15
	s_waitcnt lgkmcnt(1)
	v_fma_f32 v1, v1, v7, -v12
	v_mul_f32_e32 v1, v15, v1
	v_div_scale_f32 v12, s[2:3], v6, v6, v1
	v_fma_f32 v29, -v31, v27, 1.0
	v_fmac_f32_e32 v27, v29, v27
	v_mul_f32_e32 v15, v28, v27
	v_fma_f32 v29, -v31, v15, v28
	v_fmac_f32_e32 v15, v29, v27
	v_div_scale_f32 v29, s[2:3], v1, v6, v1
	v_rcp_f32_e32 v32, v26
	v_fma_f32 v28, -v31, v15, v28
	v_div_fmas_f32 v15, v28, v27, v15
	s_mov_b64 vcc, s[0:1]
	v_fma_f32 v27, -v26, v32, 1.0
	v_fmac_f32_e32 v32, v27, v32
	v_mul_f32_e32 v27, v30, v32
	v_fma_f32 v28, -v26, v27, v30
	v_fmac_f32_e32 v27, v28, v32
	v_rcp_f32_e32 v28, v12
	v_fma_f32 v26, -v26, v27, v30
	v_div_fmas_f32 v26, v26, v32, v27
	s_mov_b64 vcc, s[2:3]
	v_fma_f32 v27, -v12, v28, 1.0
	v_fmac_f32_e32 v28, v27, v28
	v_mul_f32_e32 v27, v29, v28
	v_fma_f32 v30, -v12, v27, v29
	v_fmac_f32_e32 v27, v30, v28
	v_fma_f32 v12, -v12, v27, v29
	v_div_fmas_f32 v12, v12, v28, v27
	v_add_f32_e32 v8, v9, v8
	v_div_fixup_f32 v9, v21, v6, v20
	v_add_f32_e32 v8, v8, v9
	v_add_f32_e32 v7, v10, v7
	v_div_fixup_f32 v9, v18, v13, v23
	v_add_f32_e32 v7, v7, v9
	v_div_fixup_f32 v9, v22, v6, v25
	v_add_f32_e32 v10, v9, v7
	s_waitcnt lgkmcnt(0)
	v_add_f32_e32 v5, v11, v5
	v_div_fixup_f32 v9, v15, v19, v24
	v_add_f32_e32 v5, v5, v9
	v_div_fixup_f32 v9, v26, v13, v14
	v_div_fixup_f32 v16, v17, v6, v16
	v_add_f32_e32 v5, v9, v5
	v_add_f32_e32 v4, v4, v16
	v_div_fixup_f32 v1, v12, v6, v1
	v_add_f32_e32 v11, v1, v5
	v_mov_b32_e32 v1, v6
	v_mov_b32_e32 v9, v8
.LBB13_83:
	s_or_b64 exec, exec, s[10:11]
.LBB13_84:
	s_or_b64 exec, exec, s[8:9]
.LBB13_85:
	v_cmp_eq_u32_e32 vcc, 0, v0
                                        ; implicit-def: $vgpr14
                                        ; implicit-def: $vgpr8
	s_and_saveexec_b64 s[0:1], vcc
	s_xor_b64 s[8:9], exec, s[0:1]
	s_cbranch_execz .LBB13_89
; %bb.86:
	s_cmp_eq_u64 s[26:27], 0
	s_waitcnt lgkmcnt(3)
	v_mov_b32_e32 v14, s22
	v_mov_b32_e32 v13, s21
	;; [unrolled: 1-line block ×3, first 2 shown]
	s_waitcnt lgkmcnt(2)
	v_mov_b32_e32 v8, s19
	s_waitcnt lgkmcnt(1)
	v_mov_b32_e32 v7, s18
	v_mov_b32_e32 v6, s17
	s_waitcnt lgkmcnt(0)
	v_mov_b32_e32 v5, s16
	s_cbranch_scc1 .LBB13_88
; %bb.87:
	v_subrev_f32_e32 v4, s19, v4
	v_add_f32_e32 v5, s16, v1
	v_mul_f32_e32 v8, v4, v1
	v_div_scale_f32 v12, s[0:1], v5, v5, v8
	v_mul_f32_e32 v15, v4, v4
	v_div_scale_f32 v13, vcc, v8, v5, v8
	v_mul_f32_e32 v17, s16, v15
	v_mov_b32_e32 v6, s17
	v_cmp_gt_f32_e64 s[0:1], s17, v2
	v_mul_f32_e32 v17, v1, v17
	v_cndmask_b32_e64 v6, v6, v2, s[0:1]
	v_div_scale_f32 v20, s[0:1], v5, v5, v17
	v_mov_b32_e32 v7, s18
	v_cmp_lt_f32_e64 s[0:1], s18, v3
	v_cndmask_b32_e64 v7, v7, v3, s[0:1]
	v_div_scale_f32 v22, s[0:1], v17, v5, v17
	v_rcp_f32_e32 v19, v12
	v_mul_f32_e32 v16, v4, v15
	v_mul_f32_e32 v18, v4, v16
	;; [unrolled: 1-line block ×3, first 2 shown]
	v_fma_f32 v3, -v12, v19, 1.0
	v_fmac_f32_e32 v19, v3, v19
	v_mul_f32_e32 v3, v13, v19
	v_fma_f32 v21, -v12, v3, v13
	v_fmac_f32_e32 v3, v21, v19
	v_rcp_f32_e32 v21, v20
	v_mul_f32_e32 v16, v1, v16
	v_sub_f32_e32 v23, s16, v1
	v_fma_f32 v12, -v12, v3, v13
	v_mul_f32_e32 v14, v5, v5
	v_mul_f32_e32 v16, v23, v16
	v_div_fmas_f32 v3, v12, v19, v3
	v_fma_f32 v12, -v20, v21, 1.0
	v_div_scale_f32 v23, s[2:3], v14, v14, v16
	v_fmac_f32_e32 v21, v12, v21
	v_mul_f32_e32 v13, v22, v21
	v_fma_f32 v19, -v20, v13, v22
	v_fmac_f32_e32 v13, v19, v21
	v_fma_f32 v19, -v20, v13, v22
	s_mov_b64 vcc, s[0:1]
	v_div_fmas_f32 v13, v19, v21, v13
	v_mul_f32_e32 v21, s20, v1
	v_div_scale_f32 v12, s[2:3], v16, v14, v16
	v_mul_f32_e32 v20, 0x40400000, v4
	v_fma_f32 v21, s16, v9, -v21
	v_mul_f32_e32 v20, v20, v21
	v_div_scale_f32 v21, s[0:1], v5, v5, v20
	v_div_scale_f32 v24, s[0:1], v20, v5, v20
	v_rcp_f32_e32 v19, v23
	v_mul_f32_e64 v25, s16, s16
	v_mul_f32_e32 v18, s16, v18
	v_fma_f32 v26, -s16, v1, v25
	v_fma_f32 v22, -v23, v19, 1.0
	v_fmac_f32_e32 v19, v22, v19
	v_mul_f32_e32 v18, v1, v18
	v_mul_f32_e32 v22, v12, v19
	v_fma_f32 v27, -v23, v22, v12
	v_fmac_f32_e32 v22, v27, v19
	v_fmac_f32_e32 v26, v1, v1
	v_mul_f32_e32 v2, v5, v14
	v_rcp_f32_e32 v27, v21
	v_mul_f32_e32 v18, v26, v18
	v_fma_f32 v12, -v23, v22, v12
	s_mov_b64 vcc, s[2:3]
	v_div_scale_f32 v26, s[10:11], v2, v2, v18
	v_div_fmas_f32 v19, v12, v19, v22
	v_fma_f32 v12, -v21, v27, 1.0
	v_fmac_f32_e32 v27, v12, v27
	v_mul_f32_e32 v12, v24, v27
	v_fma_f32 v22, -v21, v12, v24
	v_fmac_f32_e32 v12, v22, v27
	v_fma_f32 v21, -v21, v12, v24
	s_mov_b64 vcc, s[0:1]
	v_div_fmas_f32 v21, v21, v27, v12
	v_mul_f32_e32 v12, v1, v1
	v_div_scale_f32 v23, vcc, v18, v2, v18
	v_mul_f32_e32 v12, s20, v12
	v_mul_f32_e32 v15, 0x40c00000, v15
	v_fmac_f32_e32 v12, v25, v9
	v_mul_f32_e32 v15, v15, v12
	v_div_scale_f32 v12, s[0:1], v14, v14, v15
	v_mul_f32_e32 v1, s21, v1
	v_rcp_f32_e32 v22, v26
	v_div_scale_f32 v25, s[0:1], v15, v14, v15
	v_mul_f32_e32 v4, 4.0, v4
	v_fma_f32 v1, s16, v10, -v1
	v_mul_f32_e32 v1, v4, v1
	v_div_scale_f32 v4, s[2:3], v5, v5, v1
	v_fma_f32 v24, -v26, v22, 1.0
	v_fmac_f32_e32 v22, v24, v22
	v_mul_f32_e32 v24, v23, v22
	v_fma_f32 v27, -v26, v24, v23
	v_fmac_f32_e32 v24, v27, v22
	v_div_scale_f32 v27, s[2:3], v1, v5, v1
	v_rcp_f32_e32 v28, v12
	v_fma_f32 v23, -v26, v24, v23
	v_div_fmas_f32 v22, v23, v22, v24
	s_mov_b64 vcc, s[0:1]
	v_fma_f32 v23, -v12, v28, 1.0
	v_fmac_f32_e32 v28, v23, v28
	v_mul_f32_e32 v23, v25, v28
	v_fma_f32 v24, -v12, v23, v25
	v_fmac_f32_e32 v23, v24, v28
	v_rcp_f32_e32 v24, v4
	v_fma_f32 v12, -v12, v23, v25
	v_div_fmas_f32 v23, v12, v28, v23
	s_mov_b64 vcc, s[2:3]
	v_fma_f32 v12, -v4, v24, 1.0
	v_fmac_f32_e32 v24, v12, v24
	v_mul_f32_e32 v12, v27, v24
	v_fma_f32 v25, -v4, v12, v27
	v_fmac_f32_e32 v12, v25, v24
	v_fma_f32 v4, -v4, v12, v27
	v_div_fmas_f32 v4, v4, v24, v12
	v_div_fixup_f32 v3, v3, v5, v8
	v_add_f32_e32 v8, s19, v3
	v_add_f32_e32 v3, s20, v9
	v_div_fixup_f32 v9, v13, v5, v17
	v_add_f32_e32 v12, v3, v9
	v_add_f32_e32 v3, s21, v10
	v_div_fixup_f32 v9, v19, v14, v16
	v_add_f32_e32 v3, v3, v9
	v_div_fixup_f32 v9, v21, v5, v20
	v_add_f32_e32 v13, v9, v3
	v_add_f32_e32 v3, s22, v11
	v_div_fixup_f32 v2, v22, v2, v18
	v_add_f32_e32 v2, v3, v2
	v_div_fixup_f32 v3, v23, v14, v15
	;; [unrolled: 2-line block ×3, first 2 shown]
	v_add_f32_e32 v14, v1, v2
.LBB13_88:
	s_or_b64 s[28:29], s[28:29], exec
.LBB13_89:
	s_or_b64 exec, exec, s[8:9]
	s_branch .LBB13_98
.LBB13_90:
	s_cmp_eq_u32 s33, 1
	s_cbranch_scc0 .LBB13_97
; %bb.91:
	s_lshl_b32 s12, s6, 8
	s_mov_b32 s7, 0
	s_lshr_b64 s[0:1], s[26:27], 8
	s_cmp_lg_u64 s[0:1], s[6:7]
	s_waitcnt lgkmcnt(0)
	v_mbcnt_lo_u32_b32 v5, -1, 0
	s_cbranch_scc0 .LBB13_100
; %bb.92:
	s_mul_i32 s0, s12, 28
	s_mul_hi_u32 s1, s12, 28
	s_add_u32 s0, s24, s0
	s_addc_u32 s1, s25, s1
	v_mad_u64_u32 v[10:11], s[0:1], v0, 28, s[0:1]
	v_mbcnt_hi_u32_b32 v6, -1, v5
	global_load_dwordx4 v[1:4], v[10:11], off
	global_load_dwordx3 v[7:9], v[10:11], off offset:16
	s_waitcnt vmcnt(1)
	v_mov_b32_dpp v11, v2 quad_perm:[1,0,3,2] row_mask:0xf bank_mask:0xf bound_ctrl:1
	v_mov_b32_dpp v12, v3 quad_perm:[1,0,3,2] row_mask:0xf bank_mask:0xf bound_ctrl:1
	v_mov_b32_dpp v13, v4 quad_perm:[1,0,3,2] row_mask:0xf bank_mask:0xf bound_ctrl:1
	s_waitcnt vmcnt(0)
	v_mov_b32_dpp v14, v7 quad_perm:[1,0,3,2] row_mask:0xf bank_mask:0xf bound_ctrl:1
	v_cmp_lt_f32_e32 vcc, v2, v11
	v_mov_b32_dpp v10, v1 quad_perm:[1,0,3,2] row_mask:0xf bank_mask:0xf bound_ctrl:1
	v_mov_b32_dpp v15, v8 quad_perm:[1,0,3,2] row_mask:0xf bank_mask:0xf bound_ctrl:1
	;; [unrolled: 1-line block ×3, first 2 shown]
	v_mul_f32_e32 v17, v1, v1
	v_sub_f32_e32 v4, v4, v13
	v_cndmask_b32_e32 v2, v11, v2, vcc
	v_cmp_gt_f32_e32 vcc, v3, v12
	v_mul_f32_e32 v20, v1, v14
	v_add_f32_e32 v18, v1, v10
	v_cndmask_b32_e32 v3, v12, v3, vcc
	v_add_f32_e32 v11, v7, v14
	v_add_f32_e32 v12, v8, v15
	;; [unrolled: 1-line block ×3, first 2 shown]
	v_mul_f32_e32 v16, v10, v10
	v_mul_f32_e32 v14, v17, v14
	;; [unrolled: 1-line block ×6, first 2 shown]
	v_fma_f32 v20, v7, v10, -v20
	v_fma_f32 v24, -v1, v10, v16
	v_fmac_f32_e32 v14, v7, v16
	v_mul_f32_e32 v7, 4.0, v4
	v_fma_f32 v8, v8, v10, -v15
	v_mul_f32_e32 v16, v4, v21
	v_div_scale_f32 v25, s[0:1], v18, v18, v22
	v_mul_f32_e32 v27, v21, v10
	v_mul_f32_e32 v20, v23, v20
	;; [unrolled: 1-line block ×7, first 2 shown]
	v_div_scale_f32 v23, s[0:1], v18, v18, v20
	v_sub_f32_e32 v19, v10, v1
	v_mul_f32_e32 v14, v21, v14
	v_div_scale_f32 v21, s[2:3], v18, v18, v8
	v_mul_f32_e32 v16, v1, v16
	v_mul_f32_e32 v17, v18, v18
	;; [unrolled: 1-line block ×4, first 2 shown]
	v_fmac_f32_e32 v24, v1, v1
	v_mul_f32_e32 v1, v1, v4
	v_div_scale_f32 v4, s[2:3], v17, v17, v10
	v_mul_f32_e32 v15, v18, v17
	v_div_scale_f32 v26, vcc, v22, v18, v22
	v_mul_f32_e32 v1, v24, v1
	v_div_scale_f32 v16, s[2:3], v15, v15, v1
	v_div_scale_f32 v19, s[2:3], v8, v18, v8
	v_div_scale_f32 v24, s[8:9], v17, v17, v14
	v_div_scale_f32 v27, s[0:1], v20, v18, v20
	v_div_scale_f32 v28, s[8:9], v10, v17, v10
	v_div_scale_f32 v30, s[10:11], v1, v15, v1
	v_rcp_f32_e32 v29, v25
	v_rcp_f32_e32 v31, v23
	;; [unrolled: 1-line block ×4, first 2 shown]
	v_fma_f32 v33, -v25, v29, 1.0
	v_fmac_f32_e32 v29, v33, v29
	v_fma_f32 v33, -v23, v31, 1.0
	v_mul_f32_e32 v36, v26, v29
	v_fmac_f32_e32 v31, v33, v31
	v_fma_f32 v33, -v21, v32, 1.0
	v_rcp_f32_e32 v35, v16
	v_fmac_f32_e32 v32, v33, v32
	v_fma_f32 v33, -v25, v36, v26
	v_fmac_f32_e32 v36, v33, v29
	v_mul_f32_e32 v33, v19, v32
	v_fma_f32 v38, -v4, v34, 1.0
	v_fma_f32 v25, -v25, v36, v26
	v_fmac_f32_e32 v34, v38, v34
	v_fma_f32 v26, -v21, v33, v19
	v_mul_f32_e32 v37, v27, v31
	v_fmac_f32_e32 v33, v26, v32
	v_mul_f32_e32 v26, v28, v34
	v_fma_f32 v39, -v23, v37, v27
	v_fma_f32 v38, -v16, v35, 1.0
	v_fma_f32 v19, -v21, v33, v19
	v_fma_f32 v21, -v4, v26, v28
	v_fmac_f32_e32 v37, v39, v31
	v_div_fmas_f32 v25, v25, v29, v36
	v_fmac_f32_e32 v35, v38, v35
	s_mov_b64 vcc, s[2:3]
	v_fmac_f32_e32 v26, v21, v34
	v_fma_f32 v23, -v23, v37, v27
	v_mul_f32_e32 v27, v30, v35
	v_div_fmas_f32 v19, v19, v32, v33
	v_fma_f32 v4, -v4, v26, v28
	s_mov_b64 vcc, s[8:9]
	v_fma_f32 v21, -v16, v27, v30
	v_div_fmas_f32 v4, v4, v34, v26
	s_mov_b64 vcc, s[0:1]
	v_fmac_f32_e32 v27, v21, v35
	v_div_fmas_f32 v21, v23, v31, v37
	v_fma_f32 v16, -v16, v27, v30
	s_mov_b64 vcc, s[10:11]
	v_div_fmas_f32 v16, v16, v35, v27
	v_div_scale_f32 v23, vcc, v14, v17, v14
	v_div_scale_f32 v26, s[0:1], v18, v18, v7
	v_div_scale_f32 v27, s[0:1], v7, v18, v7
	v_rcp_f32_e32 v28, v24
	v_div_fixup_f32 v8, v19, v18, v8
	v_add_f32_e32 v8, v11, v8
	v_div_fixup_f32 v4, v4, v17, v10
	v_add_f32_e32 v4, v12, v4
	v_div_fixup_f32 v22, v25, v18, v22
	v_div_fixup_f32 v10, v21, v18, v20
	v_add_f32_e32 v4, v10, v4
	v_fma_f32 v10, -v24, v28, 1.0
	v_fmac_f32_e32 v28, v10, v28
	v_mul_f32_e32 v10, v23, v28
	v_fma_f32 v11, -v24, v10, v23
	v_fmac_f32_e32 v10, v11, v28
	v_rcp_f32_e32 v11, v26
	v_fma_f32 v12, -v24, v10, v23
	v_div_fmas_f32 v10, v12, v28, v10
	v_div_fixup_f32 v1, v16, v15, v1
	v_fma_f32 v12, -v26, v11, 1.0
	v_fmac_f32_e32 v11, v12, v11
	v_mul_f32_e32 v12, v27, v11
	v_fma_f32 v15, -v26, v12, v27
	v_fmac_f32_e32 v12, v15, v11
	v_add_f32_e32 v13, v22, v13
	v_fma_f32 v15, -v26, v12, v27
	s_mov_b64 vcc, s[0:1]
	v_div_fmas_f32 v11, v15, v11, v12
	v_mov_b32_dpp v15, v13 quad_perm:[2,3,0,1] row_mask:0xf bank_mask:0xf bound_ctrl:1
	v_mov_b32_dpp v12, v18 quad_perm:[2,3,0,1] row_mask:0xf bank_mask:0xf bound_ctrl:1
	v_sub_f32_e32 v13, v13, v15
	v_add_f32_e32 v16, v18, v12
	v_mul_f32_e32 v19, v18, v13
	v_div_scale_f32 v20, s[0:1], v16, v16, v19
	v_add_f32_e32 v1, v9, v1
	v_div_fixup_f32 v9, v10, v17, v14
	v_mul_f32_e32 v10, v13, v13
	v_div_scale_f32 v14, vcc, v19, v16, v19
	v_mul_f32_e32 v21, v10, v12
	v_mul_f32_e32 v21, v18, v21
	v_div_scale_f32 v22, s[0:1], v16, v16, v21
	v_add_f32_e32 v1, v9, v1
	v_div_scale_f32 v9, s[0:1], v21, v16, v21
	v_div_fixup_f32 v7, v11, v18, v7
	v_mul_f32_e32 v25, v13, v10
	v_rcp_f32_e32 v11, v20
	v_mul_f32_e32 v24, v16, v16
	v_add_f32_e32 v1, v7, v1
	v_mov_b32_dpp v7, v2 quad_perm:[2,3,0,1] row_mask:0xf bank_mask:0xf bound_ctrl:1
	v_fma_f32 v26, -v20, v11, 1.0
	v_fmac_f32_e32 v11, v26, v11
	v_mul_f32_e32 v26, v14, v11
	v_fma_f32 v27, -v20, v26, v14
	v_fmac_f32_e32 v26, v27, v11
	v_rcp_f32_e32 v27, v22
	v_fma_f32 v14, -v20, v26, v14
	v_div_fmas_f32 v11, v14, v11, v26
	s_mov_b64 vcc, s[0:1]
	v_fma_f32 v14, -v22, v27, 1.0
	v_fmac_f32_e32 v27, v14, v27
	v_mul_f32_e32 v14, v9, v27
	v_fma_f32 v20, -v22, v14, v9
	v_fmac_f32_e32 v14, v20, v27
	v_fma_f32 v9, -v22, v14, v9
	v_div_fmas_f32 v9, v9, v27, v14
	v_mul_f32_e32 v14, v25, v12
	v_mul_f32_e32 v14, v18, v14
	v_sub_f32_e32 v20, v12, v18
	v_mul_f32_e32 v14, v20, v14
	v_div_scale_f32 v20, s[0:1], v24, v24, v14
	v_mov_b32_dpp v23, v3 quad_perm:[2,3,0,1] row_mask:0xf bank_mask:0xf bound_ctrl:1
	v_cmp_lt_f32_e32 vcc, v2, v7
	v_mov_b32_dpp v22, v8 quad_perm:[2,3,0,1] row_mask:0xf bank_mask:0xf bound_ctrl:1
	v_cndmask_b32_e32 v2, v7, v2, vcc
	v_cmp_gt_f32_e32 vcc, v3, v23
	v_cndmask_b32_e32 v3, v23, v3, vcc
	v_mul_f32_e32 v23, v18, v22
	v_div_fixup_f32 v7, v11, v16, v19
	v_div_scale_f32 v19, vcc, v14, v24, v14
	v_div_fixup_f32 v9, v9, v16, v21
	v_mul_f32_e32 v21, 0x40400000, v13
	v_fma_f32 v23, v8, v12, -v23
	v_mul_f32_e32 v21, v21, v23
	v_div_scale_f32 v23, s[0:1], v16, v16, v21
	v_div_scale_f32 v29, s[0:1], v21, v16, v21
	v_mul_f32_e32 v25, v13, v25
	v_add_f32_e32 v7, v7, v15
	v_rcp_f32_e32 v15, v20
	v_mul_f32_e32 v30, v12, v12
	v_mul_f32_e32 v25, v25, v12
	v_fma_f32 v31, -v18, v12, v30
	v_mul_f32_e32 v25, v18, v25
	v_fmac_f32_e32 v31, v18, v18
	v_mul_f32_e32 v28, v16, v24
	v_mul_f32_e32 v25, v31, v25
	v_div_scale_f32 v31, s[2:3], v28, v28, v25
	v_fma_f32 v32, -v20, v15, 1.0
	v_fmac_f32_e32 v15, v32, v15
	v_mul_f32_e32 v32, v19, v15
	v_fma_f32 v33, -v20, v32, v19
	v_fmac_f32_e32 v32, v33, v15
	v_rcp_f32_e32 v33, v23
	v_fma_f32 v19, -v20, v32, v19
	v_div_fmas_f32 v15, v19, v15, v32
	v_mul_f32_e32 v17, v17, v22
	v_fma_f32 v19, -v23, v33, 1.0
	v_fmac_f32_e32 v33, v19, v33
	v_mul_f32_e32 v19, v29, v33
	v_fma_f32 v20, -v23, v19, v29
	v_fmac_f32_e32 v19, v20, v33
	v_fma_f32 v20, -v23, v19, v29
	v_div_scale_f32 v29, s[2:3], v25, v28, v25
	v_mul_f32_e32 v10, 0x40c00000, v10
	v_fmac_f32_e32 v17, v30, v8
	v_add_f32_e32 v11, v8, v22
	v_mul_f32_e32 v8, v10, v17
	v_div_scale_f32 v10, s[8:9], v24, v24, v8
	v_rcp_f32_e32 v23, v31
	s_mov_b64 vcc, s[0:1]
	v_div_fmas_f32 v17, v20, v33, v19
	v_mov_b32_dpp v26, v4 quad_perm:[2,3,0,1] row_mask:0xf bank_mask:0xf bound_ctrl:1
	v_fma_f32 v19, -v31, v23, 1.0
	v_fmac_f32_e32 v23, v19, v23
	v_div_scale_f32 v19, s[0:1], v8, v24, v8
	v_mul_f32_e32 v18, v18, v26
	v_add_f32_e32 v9, v11, v9
	v_add_f32_e32 v11, v4, v26
	v_mul_f32_e32 v13, 4.0, v13
	v_fma_f32 v4, v4, v12, -v18
	v_mul_f32_e32 v4, v13, v4
	v_mul_f32_e32 v13, v29, v23
	v_fma_f32 v18, -v31, v13, v29
	v_fmac_f32_e32 v13, v18, v23
	v_rcp_f32_e32 v18, v10
	v_div_scale_f32 v12, s[8:9], v16, v16, v4
	v_fma_f32 v22, -v31, v13, v29
	s_mov_b64 vcc, s[2:3]
	v_div_fmas_f32 v13, v22, v23, v13
	v_fma_f32 v22, -v10, v18, 1.0
	v_fmac_f32_e32 v18, v22, v18
	v_mul_f32_e32 v22, v19, v18
	v_div_scale_f32 v20, s[8:9], v4, v16, v4
	v_fma_f32 v23, -v10, v22, v19
	v_fmac_f32_e32 v22, v23, v18
	v_fma_f32 v10, -v10, v22, v19
	s_mov_b64 vcc, s[0:1]
	v_div_fmas_f32 v10, v10, v18, v22
	v_div_fixup_f32 v14, v15, v24, v14
	v_rcp_f32_e32 v19, v12
	v_mov_b32_dpp v27, v1 quad_perm:[2,3,0,1] row_mask:0xf bank_mask:0xf bound_ctrl:1
	v_add_f32_e32 v1, v1, v27
	s_mov_b64 vcc, s[8:9]
	v_fma_f32 v15, -v12, v19, 1.0
	v_fmac_f32_e32 v19, v15, v19
	v_div_fixup_f32 v13, v13, v28, v25
	v_add_f32_e32 v1, v1, v13
	v_mul_f32_e32 v15, v20, v19
	v_fma_f32 v18, -v12, v15, v20
	v_fmac_f32_e32 v15, v18, v19
	v_mov_b32_dpp v13, v7 row_ror:4 row_mask:0xf bank_mask:0xf bound_ctrl:1
	v_fma_f32 v12, -v12, v15, v20
	v_add_f32_e32 v11, v11, v14
	v_div_fixup_f32 v14, v17, v16, v21
	v_div_fixup_f32 v8, v10, v24, v8
	v_mov_b32_dpp v10, v16 row_ror:4 row_mask:0xf bank_mask:0xf bound_ctrl:1
	v_sub_f32_e32 v7, v7, v13
	v_div_fmas_f32 v12, v12, v19, v15
	v_add_f32_e32 v11, v14, v11
	v_add_f32_e32 v14, v16, v10
	v_mul_f32_e32 v15, v16, v7
	v_div_scale_f32 v17, s[0:1], v14, v14, v15
	v_add_f32_e32 v1, v8, v1
	v_div_scale_f32 v8, vcc, v15, v14, v15
	v_mul_f32_e32 v18, v7, v7
	v_mul_f32_e32 v19, v18, v10
	;; [unrolled: 1-line block ×3, first 2 shown]
	v_div_scale_f32 v20, s[0:1], v14, v14, v19
	v_mul_f32_e32 v27, v7, v18
	v_mul_f32_e32 v28, v7, v27
	;; [unrolled: 1-line block ×5, first 2 shown]
	v_mov_b32_dpp v21, v9 row_ror:4 row_mask:0xf bank_mask:0xf bound_ctrl:1
	v_rcp_f32_e32 v25, v17
	v_mul_f32_e32 v33, v16, v21
	v_mul_f32_e32 v32, 0x40400000, v7
	v_fma_f32 v33, v9, v10, -v33
	v_fma_f32 v29, -v17, v25, 1.0
	v_fmac_f32_e32 v25, v29, v25
	v_mul_f32_e32 v29, v8, v25
	v_fma_f32 v30, -v17, v29, v8
	v_fmac_f32_e32 v29, v30, v25
	v_fma_f32 v8, -v17, v29, v8
	v_div_fmas_f32 v8, v8, v25, v29
	v_div_scale_f32 v25, vcc, v19, v14, v19
	v_sub_f32_e32 v29, v10, v16
	v_mul_f32_e32 v27, v29, v27
	v_div_scale_f32 v29, s[0:1], v23, v23, v27
	v_rcp_f32_e32 v17, v20
	v_div_scale_f32 v31, s[0:1], v27, v23, v27
	v_mul_f32_e32 v32, v32, v33
	v_div_scale_f32 v33, s[2:3], v14, v14, v32
	v_fma_f32 v30, -v20, v17, 1.0
	v_fmac_f32_e32 v17, v30, v17
	v_mul_f32_e32 v28, v28, v10
	v_mul_f32_e32 v28, v16, v28
	;; [unrolled: 1-line block ×3, first 2 shown]
	v_fma_f32 v34, -v20, v30, v25
	v_fmac_f32_e32 v30, v34, v17
	v_div_scale_f32 v34, s[2:3], v32, v14, v32
	v_rcp_f32_e32 v35, v29
	v_fma_f32 v20, -v20, v30, v25
	v_div_fmas_f32 v17, v20, v17, v30
	s_mov_b64 vcc, s[0:1]
	v_fma_f32 v20, -v29, v35, 1.0
	v_fmac_f32_e32 v35, v20, v35
	v_mul_f32_e32 v20, v31, v35
	v_fma_f32 v25, -v29, v20, v31
	v_fmac_f32_e32 v20, v25, v35
	v_rcp_f32_e32 v25, v33
	v_fma_f32 v29, -v29, v20, v31
	v_div_fmas_f32 v20, v29, v35, v20
	s_mov_b64 vcc, s[2:3]
	v_fma_f32 v29, -v33, v25, 1.0
	v_fmac_f32_e32 v25, v29, v25
	v_mul_f32_e32 v29, v34, v25
	v_fma_f32 v30, -v33, v29, v34
	v_fmac_f32_e32 v29, v30, v25
	v_fma_f32 v30, -v33, v29, v34
	v_div_fmas_f32 v25, v30, v25, v29
	v_mul_f32_e32 v29, v10, v10
	v_fma_f32 v30, -v16, v10, v29
	v_fmac_f32_e32 v30, v16, v16
	v_mul_f32_e32 v26, v14, v23
	v_mul_f32_e32 v28, v30, v28
	v_div_scale_f32 v30, s[0:1], v26, v26, v28
	v_div_fixup_f32 v4, v12, v16, v4
	v_add_f32_e32 v1, v4, v1
	v_mov_b32_dpp v12, v3 row_ror:4 row_mask:0xf bank_mask:0xf bound_ctrl:1
	v_mov_b32_dpp v4, v2 row_ror:4 row_mask:0xf bank_mask:0xf bound_ctrl:1
	v_cmp_lt_f32_e32 vcc, v2, v4
	v_cndmask_b32_e32 v2, v4, v2, vcc
	v_cmp_gt_f32_e32 vcc, v3, v12
	v_cndmask_b32_e32 v3, v12, v3, vcc
	v_div_fixup_f32 v4, v8, v14, v15
	v_div_scale_f32 v15, vcc, v28, v26, v28
	v_div_fixup_f32 v12, v17, v14, v19
	v_mul_f32_e32 v17, 0x40c00000, v18
	v_mul_f32_e32 v18, v24, v21
	v_fmac_f32_e32 v18, v29, v9
	v_add_f32_e32 v8, v9, v21
	v_mul_f32_e32 v9, v17, v18
	v_div_scale_f32 v17, s[0:1], v23, v23, v9
	v_mov_b32_dpp v22, v11 row_ror:4 row_mask:0xf bank_mask:0xf bound_ctrl:1
	v_add_f32_e32 v4, v4, v13
	v_add_f32_e32 v8, v8, v12
	;; [unrolled: 1-line block ×3, first 2 shown]
	v_div_fixup_f32 v13, v20, v23, v27
	v_add_f32_e32 v12, v12, v13
	v_div_fixup_f32 v13, v25, v14, v32
	v_mul_f32_e32 v16, v16, v22
	v_add_f32_e32 v12, v13, v12
	v_rcp_f32_e32 v13, v30
	v_div_scale_f32 v19, s[0:1], v9, v23, v9
	v_mul_f32_e32 v7, 4.0, v7
	v_fma_f32 v10, v11, v10, -v16
	v_mul_f32_e32 v7, v7, v10
	v_div_scale_f32 v10, s[2:3], v14, v14, v7
	v_fma_f32 v18, -v30, v13, 1.0
	v_fmac_f32_e32 v13, v18, v13
	v_mul_f32_e32 v11, v15, v13
	v_fma_f32 v16, -v30, v11, v15
	v_fmac_f32_e32 v11, v16, v13
	v_div_scale_f32 v16, s[2:3], v7, v14, v7
	v_rcp_f32_e32 v18, v17
	v_fma_f32 v15, -v30, v11, v15
	v_div_fmas_f32 v11, v15, v13, v11
	s_mov_b64 vcc, s[0:1]
	v_fma_f32 v13, -v17, v18, 1.0
	v_fmac_f32_e32 v18, v13, v18
	v_mul_f32_e32 v13, v19, v18
	v_fma_f32 v15, -v17, v13, v19
	v_fmac_f32_e32 v13, v15, v18
	v_rcp_f32_e32 v15, v10
	v_fma_f32 v17, -v17, v13, v19
	v_div_fmas_f32 v13, v17, v18, v13
	s_mov_b64 vcc, s[2:3]
	v_fma_f32 v17, -v10, v15, 1.0
	v_fmac_f32_e32 v15, v17, v15
	v_mul_f32_e32 v17, v16, v15
	v_fma_f32 v18, -v10, v17, v16
	v_fmac_f32_e32 v17, v18, v15
	v_fma_f32 v10, -v10, v17, v16
	v_mov_b32_dpp v16, v4 row_ror:8 row_mask:0xf bank_mask:0xf bound_ctrl:1
	v_div_fmas_f32 v10, v10, v15, v17
	v_mov_b32_dpp v15, v14 row_ror:8 row_mask:0xf bank_mask:0xf bound_ctrl:1
	v_sub_f32_e32 v4, v4, v16
	v_add_f32_e32 v17, v14, v15
	v_mul_f32_e32 v18, v14, v4
	v_div_scale_f32 v19, s[0:1], v17, v17, v18
	v_mul_f32_e32 v20, v4, v4
	v_div_scale_f32 v21, vcc, v18, v17, v18
	v_mul_f32_e32 v22, v20, v15
	v_mul_f32_e32 v22, v14, v22
	v_div_scale_f32 v24, s[0:1], v17, v17, v22
	v_mov_b32_dpp v31, v1 row_ror:4 row_mask:0xf bank_mask:0xf bound_ctrl:1
	v_add_f32_e32 v1, v1, v31
	v_div_fixup_f32 v11, v11, v26, v28
	v_add_f32_e32 v1, v1, v11
	v_div_fixup_f32 v9, v13, v23, v9
	v_add_f32_e32 v1, v9, v1
	v_div_scale_f32 v9, s[0:1], v22, v17, v22
	v_div_fixup_f32 v7, v10, v14, v7
	v_rcp_f32_e32 v10, v19
	v_mul_f32_e32 v11, v4, v20
	v_add_f32_e32 v1, v7, v1
	v_mul_f32_e32 v7, v17, v17
	v_fma_f32 v13, -v19, v10, 1.0
	v_fmac_f32_e32 v10, v13, v10
	v_mul_f32_e32 v13, v21, v10
	v_fma_f32 v25, -v19, v13, v21
	v_fmac_f32_e32 v13, v25, v10
	v_rcp_f32_e32 v25, v24
	v_fma_f32 v19, -v19, v13, v21
	v_div_fmas_f32 v10, v19, v10, v13
	s_mov_b64 vcc, s[0:1]
	v_fma_f32 v13, -v24, v25, 1.0
	v_fmac_f32_e32 v25, v13, v25
	v_mul_f32_e32 v13, v9, v25
	v_fma_f32 v19, -v24, v13, v9
	v_fmac_f32_e32 v13, v19, v25
	v_fma_f32 v9, -v24, v13, v9
	v_div_fmas_f32 v9, v9, v25, v13
	v_mul_f32_e32 v19, v11, v15
	v_mul_f32_e32 v19, v14, v19
	v_sub_f32_e32 v21, v15, v14
	v_mul_f32_e32 v19, v21, v19
	v_div_scale_f32 v21, s[2:3], v7, v7, v19
	v_mov_b32_dpp v13, v2 row_ror:8 row_mask:0xf bank_mask:0xf bound_ctrl:1
	v_mov_b32_dpp v24, v3 row_ror:8 row_mask:0xf bank_mask:0xf bound_ctrl:1
	v_cmp_lt_f32_e32 vcc, v2, v13
	v_cndmask_b32_e32 v2, v13, v2, vcc
	v_cmp_gt_f32_e32 vcc, v3, v24
	v_mov_b32_dpp v25, v8 row_ror:8 row_mask:0xf bank_mask:0xf bound_ctrl:1
	v_cndmask_b32_e32 v3, v24, v3, vcc
	v_div_fixup_f32 v10, v10, v17, v18
	v_div_scale_f32 v18, vcc, v19, v7, v19
	v_mul_f32_e32 v24, v14, v25
	v_div_fixup_f32 v9, v9, v17, v22
	v_mul_f32_e32 v22, 0x40400000, v4
	v_fma_f32 v24, v8, v15, -v24
	v_mul_f32_e32 v22, v22, v24
	v_div_scale_f32 v24, s[0:1], v17, v17, v22
	v_mul_f32_e32 v11, v4, v11
	v_mul_f32_e32 v30, v15, v15
	;; [unrolled: 1-line block ×3, first 2 shown]
	v_fma_f32 v31, -v14, v15, v30
	v_rcp_f32_e32 v13, v21
	v_div_scale_f32 v29, s[0:1], v22, v17, v22
	v_mul_f32_e32 v11, v14, v11
	v_fmac_f32_e32 v31, v14, v14
	v_mul_f32_e32 v28, v17, v7
	v_mul_f32_e32 v11, v31, v11
	v_div_scale_f32 v31, s[2:3], v28, v28, v11
	v_add_f32_e32 v10, v10, v16
	v_add_f32_e32 v16, v8, v25
	;; [unrolled: 1-line block ×3, first 2 shown]
	v_fma_f32 v16, -v21, v13, 1.0
	v_fmac_f32_e32 v13, v16, v13
	v_mul_f32_e32 v16, v18, v13
	v_fma_f32 v32, -v21, v16, v18
	v_fmac_f32_e32 v16, v32, v13
	v_div_scale_f32 v32, s[2:3], v11, v28, v11
	v_rcp_f32_e32 v33, v24
	v_fma_f32 v18, -v21, v16, v18
	v_div_fmas_f32 v13, v18, v13, v16
	v_mul_f32_e32 v23, v23, v25
	v_fma_f32 v16, -v24, v33, 1.0
	v_fmac_f32_e32 v33, v16, v33
	v_mul_f32_e32 v16, v29, v33
	v_fma_f32 v18, -v24, v16, v29
	v_fmac_f32_e32 v16, v18, v33
	v_rcp_f32_e32 v18, v31
	v_mul_f32_e32 v20, 0x40c00000, v20
	v_fmac_f32_e32 v23, v30, v8
	v_fma_f32 v21, -v24, v16, v29
	s_mov_b64 vcc, s[0:1]
	v_mul_f32_e32 v8, v20, v23
	v_div_fmas_f32 v16, v21, v33, v16
	v_fma_f32 v21, -v31, v18, 1.0
	v_div_scale_f32 v20, s[0:1], v7, v7, v8
	v_fmac_f32_e32 v18, v21, v18
	v_mul_f32_e32 v21, v32, v18
	v_fma_f32 v24, -v31, v21, v32
	v_mov_b32_dpp v26, v12 row_ror:8 row_mask:0xf bank_mask:0xf bound_ctrl:1
	v_fmac_f32_e32 v21, v24, v18
	v_fma_f32 v24, -v31, v21, v32
	s_mov_b64 vcc, s[2:3]
	v_mul_f32_e32 v14, v14, v26
	v_div_fmas_f32 v18, v24, v18, v21
	v_div_scale_f32 v21, vcc, v8, v7, v8
	v_mul_f32_e32 v4, 4.0, v4
	v_fma_f32 v14, v12, v15, -v14
	v_mul_f32_e32 v4, v4, v14
	v_div_scale_f32 v14, s[0:1], v17, v17, v4
	v_div_scale_f32 v15, s[0:1], v4, v17, v4
	v_add_f32_e32 v12, v12, v26
	v_div_fixup_f32 v13, v13, v7, v19
	v_add_f32_e32 v12, v12, v13
	v_div_fixup_f32 v13, v16, v17, v22
	v_rcp_f32_e32 v16, v20
	v_add_f32_e32 v12, v13, v12
	v_div_fixup_f32 v11, v18, v28, v11
	v_mov_b32_dpp v27, v1 row_ror:8 row_mask:0xf bank_mask:0xf bound_ctrl:1
	v_fma_f32 v13, -v20, v16, 1.0
	v_fmac_f32_e32 v16, v13, v16
	v_mul_f32_e32 v13, v21, v16
	v_fma_f32 v18, -v20, v13, v21
	v_fmac_f32_e32 v13, v18, v16
	v_rcp_f32_e32 v18, v14
	v_fma_f32 v19, -v20, v13, v21
	v_div_fmas_f32 v13, v19, v16, v13
	s_mov_b64 vcc, s[0:1]
	v_fma_f32 v16, -v14, v18, 1.0
	v_fmac_f32_e32 v18, v16, v18
	v_mul_f32_e32 v16, v15, v18
	v_fma_f32 v19, -v14, v16, v15
	v_fmac_f32_e32 v16, v19, v18
	v_fma_f32 v14, -v14, v16, v15
	v_div_fmas_f32 v14, v14, v18, v16
	v_mov_b32_dpp v16, v10 row_bcast:15 row_mask:0xf bank_mask:0xf bound_ctrl:1
	v_mov_b32_dpp v15, v17 row_bcast:15 row_mask:0xf bank_mask:0xf bound_ctrl:1
	v_sub_f32_e32 v10, v10, v16
	v_add_f32_e32 v18, v17, v15
	v_mul_f32_e32 v19, v17, v10
	v_div_scale_f32 v20, s[0:1], v18, v18, v19
	v_add_f32_e32 v1, v1, v27
	v_add_f32_e32 v1, v1, v11
	v_mul_f32_e32 v11, v10, v10
	v_div_fixup_f32 v8, v13, v7, v8
	v_div_scale_f32 v13, vcc, v19, v18, v19
	v_mul_f32_e32 v21, v11, v15
	v_mul_f32_e32 v21, v17, v21
	v_div_scale_f32 v22, s[0:1], v18, v18, v21
	v_add_f32_e32 v1, v8, v1
	v_div_scale_f32 v8, s[0:1], v21, v18, v21
	v_div_fixup_f32 v4, v14, v17, v4
	v_rcp_f32_e32 v14, v20
	v_mul_f32_e32 v25, v10, v11
	v_mul_f32_e32 v24, v18, v18
	v_add_f32_e32 v1, v4, v1
	v_fma_f32 v26, -v20, v14, 1.0
	v_fmac_f32_e32 v14, v26, v14
	v_mul_f32_e32 v26, v13, v14
	v_fma_f32 v27, -v20, v26, v13
	v_fmac_f32_e32 v26, v27, v14
	v_fma_f32 v13, -v20, v26, v13
	v_rcp_f32_e32 v27, v22
	v_div_fmas_f32 v13, v13, v14, v26
	s_mov_b64 vcc, s[0:1]
	v_mov_b32_dpp v4, v2 row_bcast:15 row_mask:0xf bank_mask:0xf bound_ctrl:1
	v_fma_f32 v14, -v22, v27, 1.0
	v_fmac_f32_e32 v27, v14, v27
	v_mul_f32_e32 v14, v8, v27
	v_fma_f32 v20, -v22, v14, v8
	v_fmac_f32_e32 v14, v20, v27
	v_fma_f32 v8, -v22, v14, v8
	v_div_fmas_f32 v8, v8, v27, v14
	v_mul_f32_e32 v14, v25, v15
	v_mul_f32_e32 v14, v17, v14
	v_sub_f32_e32 v20, v15, v17
	v_mul_f32_e32 v14, v20, v14
	v_div_scale_f32 v20, s[0:1], v24, v24, v14
	v_mov_b32_dpp v23, v3 row_bcast:15 row_mask:0xf bank_mask:0xf bound_ctrl:1
	v_cmp_lt_f32_e32 vcc, v2, v4
	v_mov_b32_dpp v22, v9 row_bcast:15 row_mask:0xf bank_mask:0xf bound_ctrl:1
	v_cndmask_b32_e32 v2, v4, v2, vcc
	v_cmp_gt_f32_e32 vcc, v3, v23
	v_cndmask_b32_e32 v3, v23, v3, vcc
	v_mul_f32_e32 v23, v17, v22
	v_div_fixup_f32 v4, v13, v18, v19
	v_div_scale_f32 v19, vcc, v14, v24, v14
	v_div_fixup_f32 v8, v8, v18, v21
	v_mul_f32_e32 v21, 0x40400000, v10
	v_fma_f32 v23, v9, v15, -v23
	v_mul_f32_e32 v21, v21, v23
	v_div_scale_f32 v23, s[0:1], v18, v18, v21
	v_div_scale_f32 v29, s[0:1], v21, v18, v21
	v_mul_f32_e32 v25, v10, v25
	v_add_f32_e32 v4, v4, v16
	v_rcp_f32_e32 v16, v20
	v_mul_f32_e32 v30, v15, v15
	v_mul_f32_e32 v25, v25, v15
	v_fma_f32 v31, -v17, v15, v30
	v_mul_f32_e32 v25, v17, v25
	v_fmac_f32_e32 v31, v17, v17
	v_mul_f32_e32 v28, v18, v24
	v_mul_f32_e32 v25, v31, v25
	v_div_scale_f32 v31, s[2:3], v28, v28, v25
	v_fma_f32 v32, -v20, v16, 1.0
	v_fmac_f32_e32 v16, v32, v16
	v_mul_f32_e32 v32, v19, v16
	v_fma_f32 v33, -v20, v32, v19
	v_fmac_f32_e32 v32, v33, v16
	v_rcp_f32_e32 v33, v23
	v_fma_f32 v19, -v20, v32, v19
	v_div_fmas_f32 v16, v19, v16, v32
	v_mul_f32_e32 v7, v7, v22
	v_fma_f32 v19, -v23, v33, 1.0
	v_fmac_f32_e32 v33, v19, v33
	v_mul_f32_e32 v19, v29, v33
	v_fma_f32 v20, -v23, v19, v29
	v_fmac_f32_e32 v19, v20, v33
	v_fma_f32 v20, -v23, v19, v29
	v_div_scale_f32 v29, s[2:3], v25, v28, v25
	v_mul_f32_e32 v11, 0x40c00000, v11
	v_fmac_f32_e32 v7, v30, v9
	v_mul_f32_e32 v7, v11, v7
	v_add_f32_e32 v13, v9, v22
	v_div_scale_f32 v9, s[8:9], v24, v24, v7
	v_rcp_f32_e32 v23, v31
	s_mov_b64 vcc, s[0:1]
	v_div_fmas_f32 v11, v20, v33, v19
	v_mov_b32_dpp v26, v12 row_bcast:15 row_mask:0xf bank_mask:0xf bound_ctrl:1
	v_fma_f32 v19, -v31, v23, 1.0
	v_fmac_f32_e32 v23, v19, v23
	v_div_scale_f32 v19, s[0:1], v7, v24, v7
	v_mul_f32_e32 v17, v17, v26
	v_add_f32_e32 v8, v13, v8
	v_add_f32_e32 v13, v12, v26
	v_mul_f32_e32 v10, 4.0, v10
	v_fma_f32 v12, v12, v15, -v17
	v_mul_f32_e32 v10, v10, v12
	v_div_scale_f32 v12, s[8:9], v18, v18, v10
	v_mul_f32_e32 v15, v29, v23
	v_fma_f32 v17, -v31, v15, v29
	v_fmac_f32_e32 v15, v17, v23
	v_rcp_f32_e32 v17, v9
	v_div_scale_f32 v20, s[8:9], v10, v18, v10
	v_fma_f32 v22, -v31, v15, v29
	s_mov_b64 vcc, s[2:3]
	v_div_fmas_f32 v15, v22, v23, v15
	v_fma_f32 v22, -v9, v17, 1.0
	v_fmac_f32_e32 v17, v22, v17
	v_mul_f32_e32 v22, v19, v17
	v_fma_f32 v23, -v9, v22, v19
	v_fmac_f32_e32 v22, v23, v17
	v_fma_f32 v9, -v9, v22, v19
	s_mov_b64 vcc, s[0:1]
	v_div_fmas_f32 v9, v9, v17, v22
	v_rcp_f32_e32 v19, v12
	v_div_fixup_f32 v14, v16, v24, v14
	s_mov_b64 vcc, s[8:9]
	v_mov_b32_dpp v27, v1 row_bcast:15 row_mask:0xf bank_mask:0xf bound_ctrl:1
	v_fma_f32 v16, -v12, v19, 1.0
	v_fmac_f32_e32 v19, v16, v19
	v_mul_f32_e32 v16, v20, v19
	v_fma_f32 v17, -v12, v16, v20
	v_fmac_f32_e32 v16, v17, v19
	v_fma_f32 v12, -v12, v16, v20
	v_div_fmas_f32 v12, v12, v19, v16
	v_add_f32_e32 v13, v13, v14
	v_div_fixup_f32 v11, v11, v18, v21
	v_add_f32_e32 v11, v11, v13
	v_add_f32_e32 v1, v1, v27
	v_div_fixup_f32 v13, v15, v28, v25
	v_add_f32_e32 v1, v1, v13
	v_div_fixup_f32 v7, v9, v24, v7
	v_mov_b32_dpp v13, v4 row_bcast:31 row_mask:0xf bank_mask:0xf bound_ctrl:1
	v_mov_b32_dpp v9, v18 row_bcast:31 row_mask:0xf bank_mask:0xf bound_ctrl:1
	v_sub_f32_e32 v4, v4, v13
	v_add_f32_e32 v14, v18, v9
	v_mul_f32_e32 v15, v18, v4
	v_div_scale_f32 v16, s[0:1], v14, v14, v15
	v_add_f32_e32 v1, v7, v1
	v_div_fixup_f32 v7, v12, v18, v10
	v_add_f32_e32 v1, v7, v1
	v_mul_f32_e32 v22, v4, v4
	v_mov_b32_dpp v7, v2 row_bcast:31 row_mask:0xf bank_mask:0xf bound_ctrl:1
	v_cmp_lt_f32_e32 vcc, v2, v7
	v_cndmask_b32_e32 v2, v7, v2, vcc
	v_div_scale_f32 v26, vcc, v15, v14, v15
	v_mul_f32_e32 v27, v22, v9
	v_mul_f32_e32 v27, v18, v27
	v_div_scale_f32 v28, s[0:1], v14, v14, v27
	v_mov_b32_dpp v10, v3 row_bcast:31 row_mask:0xf bank_mask:0xf bound_ctrl:1
	v_rcp_f32_e32 v7, v16
	v_cmp_gt_f32_e64 s[0:1], v3, v10
	v_cndmask_b32_e64 v3, v10, v3, s[0:1]
	v_mul_f32_e32 v23, v4, v22
	v_fma_f32 v10, -v16, v7, 1.0
	v_fmac_f32_e32 v7, v10, v7
	v_div_scale_f32 v10, s[0:1], v27, v14, v27
	v_mul_f32_e32 v25, v4, v23
	v_mul_f32_e32 v23, v23, v9
	;; [unrolled: 1-line block ×3, first 2 shown]
	v_sub_f32_e32 v29, v9, v18
	v_mul_f32_e32 v20, v14, v14
	v_mul_f32_e32 v23, v29, v23
	v_div_scale_f32 v29, s[2:3], v20, v20, v23
	v_mul_f32_e32 v30, v26, v7
	v_fma_f32 v31, -v16, v30, v26
	v_fmac_f32_e32 v30, v31, v7
	v_rcp_f32_e32 v31, v28
	v_fma_f32 v16, -v16, v30, v26
	v_div_fmas_f32 v7, v16, v7, v30
	v_mov_b32_dpp v12, v8 row_bcast:31 row_mask:0xf bank_mask:0xf bound_ctrl:1
	v_fma_f32 v16, -v28, v31, 1.0
	v_fmac_f32_e32 v31, v16, v31
	v_mul_f32_e32 v16, v10, v31
	v_fma_f32 v26, -v28, v16, v10
	v_fmac_f32_e32 v16, v26, v31
	v_fma_f32 v10, -v28, v16, v10
	s_mov_b64 vcc, s[0:1]
	v_mul_f32_e32 v30, v18, v12
	v_div_fmas_f32 v10, v10, v31, v16
	v_div_scale_f32 v26, vcc, v23, v20, v23
	v_mul_f32_e32 v28, 0x40400000, v4
	v_fma_f32 v30, v8, v9, -v30
	v_mul_f32_e32 v28, v28, v30
	v_div_scale_f32 v30, s[0:1], v14, v14, v28
	v_rcp_f32_e32 v16, v29
	v_mul_f32_e32 v32, v9, v9
	v_mul_f32_e32 v25, v25, v9
	v_fma_f32 v33, -v18, v9, v32
	v_fma_f32 v31, -v29, v16, 1.0
	v_fmac_f32_e32 v16, v31, v16
	v_div_scale_f32 v31, s[0:1], v28, v14, v28
	v_mul_f32_e32 v25, v18, v25
	v_mul_f32_e32 v34, v26, v16
	v_fma_f32 v35, -v29, v34, v26
	v_fmac_f32_e32 v34, v35, v16
	v_fmac_f32_e32 v33, v18, v18
	v_mul_f32_e32 v21, v14, v20
	v_rcp_f32_e32 v35, v30
	v_mul_f32_e32 v25, v33, v25
	v_fma_f32 v26, -v29, v34, v26
	v_div_scale_f32 v33, s[2:3], v21, v21, v25
	v_div_fmas_f32 v16, v26, v16, v34
	v_fma_f32 v26, -v30, v35, 1.0
	v_fmac_f32_e32 v35, v26, v35
	v_mul_f32_e32 v26, v31, v35
	v_fma_f32 v29, -v30, v26, v31
	v_fmac_f32_e32 v26, v29, v35
	v_fma_f32 v29, -v30, v26, v31
	s_mov_b64 vcc, s[0:1]
	v_div_fmas_f32 v26, v29, v35, v26
	v_div_scale_f32 v30, vcc, v25, v21, v25
	v_mul_f32_e32 v24, v24, v12
	v_mul_f32_e32 v22, 0x40c00000, v22
	v_fmac_f32_e32 v24, v32, v8
	v_mul_f32_e32 v22, v22, v24
	v_div_scale_f32 v24, s[0:1], v20, v20, v22
	v_mov_b32_dpp v17, v11 row_bcast:31 row_mask:0xf bank_mask:0xf bound_ctrl:1
	v_mul_f32_e32 v18, v18, v17
	v_rcp_f32_e32 v29, v33
	v_div_scale_f32 v32, s[0:1], v22, v20, v22
	v_mul_f32_e32 v4, 4.0, v4
	v_fma_f32 v9, v11, v9, -v18
	v_mul_f32_e32 v4, v4, v9
	v_div_scale_f32 v9, s[2:3], v14, v14, v4
	v_fma_f32 v31, -v33, v29, 1.0
	v_fmac_f32_e32 v29, v31, v29
	v_mul_f32_e32 v18, v30, v29
	v_fma_f32 v31, -v33, v18, v30
	v_fmac_f32_e32 v18, v31, v29
	v_div_scale_f32 v31, s[2:3], v4, v14, v4
	v_rcp_f32_e32 v34, v24
	v_fma_f32 v30, -v33, v18, v30
	v_div_fmas_f32 v18, v30, v29, v18
	s_mov_b64 vcc, s[0:1]
	v_fma_f32 v29, -v24, v34, 1.0
	v_fmac_f32_e32 v34, v29, v34
	v_mul_f32_e32 v29, v32, v34
	v_fma_f32 v30, -v24, v29, v32
	v_fmac_f32_e32 v29, v30, v34
	v_rcp_f32_e32 v30, v9
	v_fma_f32 v24, -v24, v29, v32
	v_div_fmas_f32 v24, v24, v34, v29
	s_mov_b64 vcc, s[2:3]
	v_fma_f32 v29, -v9, v30, 1.0
	v_fmac_f32_e32 v30, v29, v30
	v_mul_f32_e32 v29, v31, v30
	v_fma_f32 v32, -v9, v29, v31
	v_fmac_f32_e32 v29, v32, v30
	v_fma_f32 v9, -v9, v29, v31
	v_div_fmas_f32 v9, v9, v30, v29
	v_div_fixup_f32 v7, v7, v14, v15
	v_add_f32_e32 v13, v7, v13
	v_add_f32_e32 v7, v8, v12
	v_div_fixup_f32 v8, v10, v14, v27
	v_add_f32_e32 v8, v7, v8
	v_add_f32_e32 v7, v11, v17
	v_div_fixup_f32 v10, v16, v20, v23
	v_mov_b32_dpp v19, v1 row_bcast:31 row_mask:0xf bank_mask:0xf bound_ctrl:1
	v_add_f32_e32 v7, v7, v10
	v_div_fixup_f32 v10, v26, v14, v28
	v_add_f32_e32 v10, v10, v7
	v_add_f32_e32 v1, v1, v19
	v_div_fixup_f32 v7, v18, v21, v25
	v_add_f32_e32 v1, v1, v7
	v_div_fixup_f32 v7, v24, v20, v22
	;; [unrolled: 2-line block ×3, first 2 shown]
	v_lshlrev_b32_e32 v7, 2, v6
	v_add_f32_e32 v11, v4, v1
	v_or_b32_e32 v12, 0xfc, v7
	ds_bpermute_b32 v1, v12, v14
	ds_bpermute_b32 v2, v12, v2
	ds_bpermute_b32 v3, v12, v3
	ds_bpermute_b32 v4, v12, v13
	ds_bpermute_b32 v9, v12, v8
	ds_bpermute_b32 v10, v12, v10
	ds_bpermute_b32 v11, v12, v11
	v_cmp_eq_u32_e32 vcc, 0, v6
	s_and_saveexec_b64 s[0:1], vcc
	s_cbranch_execz .LBB13_94
; %bb.93:
	v_lshrrev_b32_e32 v8, 6, v0
	v_mul_u32_u24_e32 v8, 28, v8
	s_waitcnt lgkmcnt(5)
	ds_write2_b32 v8, v1, v2 offset0:28 offset1:29
	s_waitcnt lgkmcnt(4)
	ds_write2_b32 v8, v3, v4 offset0:30 offset1:31
	;; [unrolled: 2-line block ×3, first 2 shown]
	s_waitcnt lgkmcnt(3)
	ds_write_b32 v8, v11 offset:136
.LBB13_94:
	s_or_b64 exec, exec, s[0:1]
	v_cmp_gt_u32_e32 vcc, 64, v0
	s_waitcnt lgkmcnt(0)
	s_barrier
	s_and_saveexec_b64 s[8:9], vcc
	s_cbranch_execz .LBB13_96
; %bb.95:
	v_and_b32_e32 v10, 3, v6
	v_mul_u32_u24_e32 v11, 28, v10
	ds_read2_b32 v[1:2], v11 offset0:28 offset1:29
	ds_read2_b32 v[3:4], v11 offset0:30 offset1:31
	;; [unrolled: 1-line block ×3, first 2 shown]
	ds_read_b32 v11, v11 offset:136
	v_cmp_ne_u32_e32 vcc, 3, v10
	v_addc_co_u32_e32 v6, vcc, 0, v6, vcc
	v_lshlrev_b32_e32 v6, 2, v6
	s_waitcnt lgkmcnt(2)
	ds_bpermute_b32 v12, v6, v4
	ds_bpermute_b32 v10, v6, v1
	;; [unrolled: 1-line block ×4, first 2 shown]
	s_waitcnt lgkmcnt(5)
	ds_bpermute_b32 v19, v6, v8
	s_waitcnt lgkmcnt(4)
	v_sub_f32_e32 v12, v12, v4
	s_waitcnt lgkmcnt(3)
	v_add_f32_e32 v13, v1, v10
	v_mul_f32_e32 v14, v12, v10
	v_div_scale_f32 v15, s[0:1], v13, v13, v14
	v_div_scale_f32 v17, vcc, v14, v13, v14
	v_mul_f32_e32 v22, v12, v12
	v_mul_f32_e32 v25, v1, v22
	;; [unrolled: 1-line block ×3, first 2 shown]
	v_div_scale_f32 v27, s[0:1], v13, v13, v25
	v_mul_f32_e32 v24, v12, v22
	v_mul_f32_e32 v21, v13, v13
	s_waitcnt lgkmcnt(1)
	v_cmp_lt_f32_e64 s[2:3], v3, v18
	v_cndmask_b32_e64 v3, v3, v18, s[2:3]
	v_mul_f32_e32 v18, 0x40400000, v12
	ds_bpermute_b32 v20, v6, v9
	v_mul_f32_e32 v23, v13, v21
	v_rcp_f32_e32 v26, v15
	v_mul_f32_e32 v22, 0x40c00000, v22
	ds_bpermute_b32 v6, v6, v11
	v_fma_f32 v28, -v15, v26, 1.0
	v_fmac_f32_e32 v26, v28, v26
	v_mul_f32_e32 v28, v17, v26
	v_fma_f32 v29, -v15, v28, v17
	v_fmac_f32_e32 v28, v29, v26
	v_fma_f32 v15, -v15, v28, v17
	v_div_fmas_f32 v15, v15, v26, v28
	v_mul_f32_e32 v26, v1, v24
	v_div_scale_f32 v17, vcc, v25, v13, v25
	v_mul_f32_e32 v26, v26, v10
	v_sub_f32_e32 v28, v1, v10
	v_mul_f32_e32 v26, v28, v26
	v_div_scale_f32 v28, s[0:1], v21, v21, v26
	v_cmp_gt_f32_e64 s[0:1], v2, v16
	v_cndmask_b32_e64 v2, v2, v16, s[0:1]
	v_div_scale_f32 v29, s[0:1], v26, v21, v26
	v_rcp_f32_e32 v16, v27
	v_mul_f32_e32 v24, v12, v24
	v_mul_f32_e32 v24, v1, v24
	v_div_fixup_f32 v14, v15, v13, v14
	v_add_f32_e32 v4, v4, v14
	v_fma_f32 v14, -v27, v16, 1.0
	v_fmac_f32_e32 v16, v14, v16
	v_mul_f32_e32 v14, v17, v16
	v_fma_f32 v15, -v27, v14, v17
	v_fmac_f32_e32 v14, v15, v16
	v_rcp_f32_e32 v15, v28
	v_fma_f32 v17, -v27, v14, v17
	v_div_fmas_f32 v14, v17, v16, v14
	v_mul_f32_e32 v27, v8, v10
	v_fma_f32 v16, -v28, v15, 1.0
	v_fmac_f32_e32 v15, v16, v15
	s_waitcnt lgkmcnt(2)
	v_fma_f32 v27, v1, v19, -v27
	v_mul_f32_e32 v16, v29, v15
	v_mul_f32_e32 v18, v18, v27
	v_fma_f32 v17, -v28, v16, v29
	v_div_scale_f32 v27, s[2:3], v13, v13, v18
	v_fmac_f32_e32 v16, v17, v15
	v_fma_f32 v17, -v28, v16, v29
	s_mov_b64 vcc, s[0:1]
	v_div_fmas_f32 v15, v17, v15, v16
	v_div_scale_f32 v17, vcc, v18, v13, v18
	v_add_f32_e32 v16, v8, v19
	v_div_fixup_f32 v14, v14, v13, v25
	v_mul_f32_e32 v28, v1, v1
	v_add_f32_e32 v14, v16, v14
	v_fma_f32 v29, -v1, v10, v28
	v_mul_f32_e32 v24, v24, v10
	v_fmac_f32_e32 v29, v10, v10
	v_mul_f32_e32 v24, v29, v24
	v_rcp_f32_e32 v16, v27
	s_waitcnt lgkmcnt(1)
	v_add_f32_e32 v25, v9, v20
	v_div_scale_f32 v29, s[0:1], v23, v23, v24
	v_mul_f32_e32 v19, v28, v19
	v_div_fixup_f32 v15, v15, v21, v26
	v_add_f32_e32 v15, v25, v15
	v_fma_f32 v25, -v27, v16, 1.0
	v_fmac_f32_e32 v16, v25, v16
	v_mul_f32_e32 v25, v17, v16
	v_fma_f32 v26, -v27, v25, v17
	v_fmac_f32_e32 v25, v26, v16
	v_fma_f32 v17, -v27, v25, v17
	v_div_fmas_f32 v16, v17, v16, v25
	v_div_scale_f32 v26, vcc, v24, v23, v24
	v_mul_f32_e32 v17, v10, v10
	v_fmac_f32_e32 v19, v8, v17
	v_mul_f32_e32 v8, v22, v19
	v_div_scale_f32 v17, s[0:1], v21, v21, v8
	v_mul_f32_e32 v9, v9, v10
	v_rcp_f32_e32 v25, v29
	v_div_scale_f32 v22, s[0:1], v8, v21, v8
	v_mul_f32_e32 v12, 4.0, v12
	v_fma_f32 v1, v1, v20, -v9
	v_mul_f32_e32 v9, v12, v1
	v_div_scale_f32 v1, s[2:3], v13, v13, v9
	v_fma_f32 v19, -v29, v25, 1.0
	v_fmac_f32_e32 v25, v19, v25
	v_mul_f32_e32 v10, v26, v25
	v_fma_f32 v12, -v29, v10, v26
	v_fmac_f32_e32 v10, v12, v25
	v_div_scale_f32 v12, s[2:3], v9, v13, v9
	v_rcp_f32_e32 v19, v17
	v_fma_f32 v20, -v29, v10, v26
	v_div_fmas_f32 v10, v20, v25, v10
	s_mov_b64 vcc, s[0:1]
	v_fma_f32 v20, -v17, v19, 1.0
	v_fmac_f32_e32 v19, v20, v19
	v_mul_f32_e32 v20, v22, v19
	v_fma_f32 v25, -v17, v20, v22
	v_fmac_f32_e32 v20, v25, v19
	v_rcp_f32_e32 v25, v1
	v_fma_f32 v17, -v17, v20, v22
	v_div_fmas_f32 v17, v17, v19, v20
	s_mov_b64 vcc, s[2:3]
	v_fma_f32 v19, -v1, v25, 1.0
	v_fmac_f32_e32 v25, v19, v25
	v_mul_f32_e32 v19, v12, v25
	v_fma_f32 v20, -v1, v19, v12
	v_fmac_f32_e32 v19, v20, v25
	v_fma_f32 v1, -v1, v19, v12
	v_div_fmas_f32 v12, v1, v25, v19
	v_div_fixup_f32 v1, v16, v13, v18
	v_add_f32_e32 v15, v1, v15
	s_waitcnt lgkmcnt(0)
	v_add_f32_e32 v1, v11, v6
	v_or_b32_e32 v6, 8, v7
	ds_bpermute_b32 v11, v6, v4
	ds_bpermute_b32 v7, v6, v13
	v_div_fixup_f32 v10, v10, v23, v24
	v_add_f32_e32 v10, v1, v10
	v_div_fixup_f32 v8, v17, v21, v8
	s_waitcnt lgkmcnt(1)
	v_sub_f32_e32 v11, v11, v4
	s_waitcnt lgkmcnt(0)
	v_add_f32_e32 v1, v13, v7
	v_mul_f32_e32 v16, v11, v7
	v_div_scale_f32 v17, s[0:1], v1, v1, v16
	v_add_f32_e32 v8, v8, v10
	v_div_fixup_f32 v9, v12, v13, v9
	v_add_f32_e32 v8, v9, v8
	ds_bpermute_b32 v9, v6, v2
	v_mul_f32_e32 v22, v11, v11
	v_mul_f32_e32 v26, v13, v22
	ds_bpermute_b32 v10, v6, v3
	v_mul_f32_e32 v26, v26, v7
	s_waitcnt lgkmcnt(1)
	v_cmp_gt_f32_e32 vcc, v2, v9
	v_cndmask_b32_e32 v2, v2, v9, vcc
	v_div_scale_f32 v25, vcc, v16, v1, v16
	v_div_scale_f32 v27, s[0:1], v1, v1, v26
	v_rcp_f32_e32 v9, v17
	s_waitcnt lgkmcnt(0)
	v_cmp_lt_f32_e64 s[0:1], v3, v10
	v_cndmask_b32_e64 v3, v3, v10, s[0:1]
	v_mul_f32_e32 v23, v11, v22
	v_fma_f32 v10, -v17, v9, 1.0
	v_fmac_f32_e32 v9, v10, v9
	v_div_scale_f32 v10, s[0:1], v26, v1, v26
	v_mul_f32_e32 v24, v11, v23
	v_mul_f32_e32 v23, v13, v23
	;; [unrolled: 1-line block ×3, first 2 shown]
	v_sub_f32_e32 v28, v13, v7
	v_mul_f32_e32 v29, v25, v9
	v_fma_f32 v30, -v17, v29, v25
	v_fmac_f32_e32 v29, v30, v9
	v_rcp_f32_e32 v30, v27
	v_mul_f32_e32 v19, v1, v1
	v_mul_f32_e32 v23, v28, v23
	v_div_scale_f32 v28, s[2:3], v19, v19, v23
	ds_bpermute_b32 v12, v6, v14
	v_fma_f32 v17, -v17, v29, v25
	v_div_fmas_f32 v9, v17, v9, v29
	v_fma_f32 v17, -v27, v30, 1.0
	v_fmac_f32_e32 v30, v17, v30
	v_mul_f32_e32 v25, v10, v30
	v_fma_f32 v29, -v27, v25, v10
	v_mul_f32_e32 v31, v14, v7
	v_div_scale_f32 v17, s[2:3], v23, v19, v23
	v_fmac_f32_e32 v25, v29, v30
	v_mul_f32_e32 v29, 0x40400000, v11
	s_waitcnt lgkmcnt(0)
	v_fma_f32 v31, v13, v12, -v31
	v_mul_f32_e32 v29, v29, v31
	v_div_scale_f32 v31, s[10:11], v1, v1, v29
	v_fma_f32 v10, -v27, v25, v10
	s_mov_b64 vcc, s[0:1]
	v_div_fmas_f32 v10, v10, v30, v25
	v_div_scale_f32 v30, s[0:1], v29, v1, v29
	v_rcp_f32_e32 v27, v28
	v_mul_f32_e32 v24, v13, v24
	v_fma_f32 v32, -v13, v7, v21
	v_mul_f32_e32 v24, v24, v7
	v_fma_f32 v25, -v28, v27, 1.0
	v_fmac_f32_e32 v27, v25, v27
	v_mul_f32_e32 v25, v17, v27
	v_fma_f32 v33, -v28, v25, v17
	v_fmac_f32_e32 v25, v33, v27
	v_rcp_f32_e32 v33, v31
	v_fmac_f32_e32 v32, v7, v7
	v_mul_f32_e32 v20, v1, v19
	v_mul_f32_e32 v24, v32, v24
	v_fma_f32 v17, -v28, v25, v17
	s_mov_b64 vcc, s[2:3]
	v_div_scale_f32 v32, s[10:11], v20, v20, v24
	v_div_fmas_f32 v17, v17, v27, v25
	v_fma_f32 v25, -v31, v33, 1.0
	v_fmac_f32_e32 v33, v25, v33
	v_mul_f32_e32 v25, v30, v33
	v_fma_f32 v27, -v31, v25, v30
	v_fmac_f32_e32 v25, v27, v33
	v_fma_f32 v27, -v31, v25, v30
	s_mov_b64 vcc, s[0:1]
	v_div_fmas_f32 v25, v27, v33, v25
	v_div_scale_f32 v30, vcc, v24, v20, v24
	v_mul_f32_e32 v27, v7, v7
	v_mul_f32_e32 v21, v21, v12
	;; [unrolled: 1-line block ×3, first 2 shown]
	v_fmac_f32_e32 v21, v27, v14
	v_mul_f32_e32 v21, v22, v21
	v_div_scale_f32 v22, s[0:1], v19, v19, v21
	ds_bpermute_b32 v18, v6, v15
	v_mul_f32_e32 v7, v15, v7
	v_rcp_f32_e32 v28, v32
	v_div_scale_f32 v31, s[0:1], v21, v19, v21
	v_mul_f32_e32 v11, 4.0, v11
	s_waitcnt lgkmcnt(0)
	v_fma_f32 v7, v13, v18, -v7
	v_mul_f32_e32 v7, v11, v7
	v_div_scale_f32 v11, s[2:3], v1, v1, v7
	v_fma_f32 v27, -v32, v28, 1.0
	v_fmac_f32_e32 v28, v27, v28
	v_mul_f32_e32 v13, v30, v28
	v_fma_f32 v27, -v32, v13, v30
	v_fmac_f32_e32 v13, v27, v28
	v_div_scale_f32 v27, s[2:3], v7, v1, v7
	v_rcp_f32_e32 v33, v22
	v_fma_f32 v30, -v32, v13, v30
	v_div_fmas_f32 v13, v30, v28, v13
	s_mov_b64 vcc, s[0:1]
	v_fma_f32 v28, -v22, v33, 1.0
	v_fmac_f32_e32 v33, v28, v33
	v_mul_f32_e32 v28, v31, v33
	v_fma_f32 v30, -v22, v28, v31
	v_fmac_f32_e32 v28, v30, v33
	v_rcp_f32_e32 v30, v11
	v_fma_f32 v22, -v22, v28, v31
	v_div_fmas_f32 v22, v22, v33, v28
	s_mov_b64 vcc, s[2:3]
	v_fma_f32 v28, -v11, v30, 1.0
	v_fmac_f32_e32 v30, v28, v30
	v_mul_f32_e32 v28, v27, v30
	v_fma_f32 v31, -v11, v28, v27
	v_fmac_f32_e32 v28, v31, v30
	v_fma_f32 v11, -v11, v28, v27
	v_div_fmas_f32 v11, v11, v30, v28
	ds_bpermute_b32 v6, v6, v8
	v_div_fixup_f32 v9, v9, v1, v16
	v_add_f32_e32 v4, v4, v9
	v_add_f32_e32 v9, v14, v12
	v_div_fixup_f32 v10, v10, v1, v26
	s_waitcnt lgkmcnt(0)
	v_add_f32_e32 v6, v8, v6
	v_div_fixup_f32 v8, v13, v20, v24
	v_add_f32_e32 v9, v9, v10
	v_add_f32_e32 v10, v15, v18
	v_div_fixup_f32 v12, v17, v19, v23
	v_add_f32_e32 v6, v6, v8
	v_div_fixup_f32 v8, v22, v19, v21
	;; [unrolled: 2-line block ×4, first 2 shown]
	v_add_f32_e32 v10, v12, v10
	v_add_f32_e32 v11, v7, v6
.LBB13_96:
	s_or_b64 exec, exec, s[8:9]
	s_branch .LBB13_124
.LBB13_97:
                                        ; implicit-def: $vgpr14
                                        ; implicit-def: $vgpr8
                                        ; implicit-def: $sgpr6_sgpr7
.LBB13_98:
	s_and_saveexec_b64 s[0:1], s[28:29]
	s_cbranch_execnz .LBB13_129
.LBB13_99:
	s_endpgm
.LBB13_100:
                                        ; implicit-def: $vgpr1
                                        ; implicit-def: $vgpr9
	s_cbranch_execz .LBB13_124
; %bb.101:
	s_sub_i32 s2, s26, s12
	v_cmp_gt_u32_e32 vcc, s2, v0
                                        ; implicit-def: $vgpr9
                                        ; implicit-def: $vgpr4
	s_and_saveexec_b64 s[0:1], vcc
	s_cbranch_execz .LBB13_103
; %bb.102:
	s_mul_hi_u32 s3, s12, 28
	s_mul_i32 s12, s12, 28
	s_add_u32 s8, s24, s12
	s_addc_u32 s9, s25, s3
	v_mad_u64_u32 v[6:7], s[8:9], v0, 28, s[8:9]
	global_load_dwordx4 v[1:4], v[6:7], off
	global_load_dwordx3 v[9:11], v[6:7], off offset:16
.LBB13_103:
	s_or_b64 exec, exec, s[0:1]
	v_mbcnt_hi_u32_b32 v5, -1, v5
	v_and_b32_e32 v6, 63, v5
	v_cmp_ne_u32_e32 vcc, 63, v6
	v_addc_co_u32_e32 v7, vcc, 0, v5, vcc
	v_lshlrev_b32_e32 v7, 2, v7
	s_waitcnt vmcnt(1)
	ds_bpermute_b32 v16, v7, v1
	ds_bpermute_b32 v15, v7, v2
	;; [unrolled: 1-line block ×4, first 2 shown]
	s_waitcnt vmcnt(0)
	ds_bpermute_b32 v13, v7, v9
	ds_bpermute_b32 v12, v7, v10
	;; [unrolled: 1-line block ×3, first 2 shown]
	s_min_u32 s10, s2, 0x100
	v_and_b32_e32 v7, 0xc0, v0
	v_sub_u32_e64 v7, s10, v7 clamp
	v_add_u32_e32 v18, 1, v6
	v_cmp_lt_u32_e32 vcc, v18, v7
	s_and_saveexec_b64 s[8:9], vcc
	s_cbranch_execz .LBB13_105
; %bb.104:
	s_waitcnt lgkmcnt(3)
	v_sub_f32_e32 v17, v17, v4
	v_add_f32_e32 v18, v1, v16
	v_mul_f32_e32 v19, v17, v16
	v_div_scale_f32 v20, s[0:1], v18, v18, v19
	v_mul_f32_e32 v22, v17, v17
	v_div_scale_f32 v23, vcc, v19, v18, v19
	v_mul_f32_e32 v24, v1, v22
	v_mul_f32_e32 v24, v24, v16
	v_div_scale_f32 v26, s[0:1], v18, v18, v24
	v_mul_f32_e32 v25, v17, v22
	v_mul_f32_e32 v27, v1, v25
	v_sub_f32_e32 v21, v1, v16
	v_div_scale_f32 v28, s[0:1], v24, v18, v24
	v_mul_f32_e32 v27, v27, v16
	v_mul_f32_e32 v21, v21, v27
	;; [unrolled: 1-line block ×3, first 2 shown]
	v_rcp_f32_e32 v29, v20
	v_div_scale_f32 v30, s[2:3], v27, v27, v21
	v_mul_f32_e32 v25, v17, v25
	v_fma_f32 v31, -v20, v29, 1.0
	v_fmac_f32_e32 v29, v31, v29
	v_mul_f32_e32 v31, v23, v29
	v_fma_f32 v32, -v20, v31, v23
	v_fmac_f32_e32 v31, v32, v29
	v_rcp_f32_e32 v32, v26
	v_fma_f32 v20, -v20, v31, v23
	v_div_fmas_f32 v20, v20, v29, v31
	s_mov_b64 vcc, s[0:1]
	v_fma_f32 v23, -v26, v32, 1.0
	v_fmac_f32_e32 v32, v23, v32
	v_mul_f32_e32 v23, v28, v32
	v_fma_f32 v29, -v26, v23, v28
	v_fmac_f32_e32 v23, v29, v32
	v_rcp_f32_e32 v29, v30
	v_fma_f32 v26, -v26, v23, v28
	v_div_fmas_f32 v23, v26, v32, v23
	v_mul_f32_e32 v28, v9, v16
	v_fma_f32 v26, -v30, v29, 1.0
	v_fmac_f32_e32 v29, v26, v29
	v_div_scale_f32 v26, vcc, v21, v27, v21
	s_waitcnt lgkmcnt(2)
	v_fma_f32 v28, v1, v13, -v28
	v_mul_f32_e32 v31, 0x40400000, v17
	v_mul_f32_e32 v28, v31, v28
	v_div_scale_f32 v31, s[0:1], v18, v18, v28
	v_div_scale_f32 v32, s[0:1], v28, v18, v28
	v_mul_f32_e32 v33, v1, v1
	v_mul_f32_e32 v25, v1, v25
	v_fma_f32 v34, -v1, v16, v33
	v_mul_f32_e32 v25, v25, v16
	v_fmac_f32_e32 v34, v16, v16
	v_mul_f32_e32 v25, v34, v25
	v_mul_f32_e32 v34, v18, v27
	;; [unrolled: 1-line block ×3, first 2 shown]
	v_fma_f32 v37, -v30, v36, v26
	v_fmac_f32_e32 v36, v37, v29
	v_fma_f32 v26, -v30, v36, v26
	v_div_scale_f32 v35, s[2:3], v34, v34, v25
	v_rcp_f32_e32 v37, v31
	v_div_fmas_f32 v26, v26, v29, v36
	s_mov_b64 vcc, s[0:1]
	v_mul_f32_e32 v22, 0x40c00000, v22
	v_fma_f32 v29, -v31, v37, 1.0
	v_fmac_f32_e32 v37, v29, v37
	v_mul_f32_e32 v29, v32, v37
	v_fma_f32 v30, -v31, v29, v32
	v_fmac_f32_e32 v29, v30, v37
	v_fma_f32 v30, -v31, v29, v32
	v_div_fmas_f32 v29, v30, v37, v29
	v_div_scale_f32 v31, vcc, v25, v34, v25
	v_mul_f32_e32 v32, v33, v13
	v_mul_f32_e32 v33, v16, v16
	v_fmac_f32_e32 v32, v9, v33
	v_mul_f32_e32 v22, v22, v32
	v_div_scale_f32 v32, s[0:1], v27, v27, v22
	v_mul_f32_e32 v16, v10, v16
	v_rcp_f32_e32 v30, v35
	v_div_scale_f32 v36, s[0:1], v22, v27, v22
	v_mul_f32_e32 v17, 4.0, v17
	s_waitcnt lgkmcnt(1)
	v_fma_f32 v1, v1, v12, -v16
	v_mul_f32_e32 v1, v17, v1
	v_div_scale_f32 v16, s[2:3], v18, v18, v1
	v_fma_f32 v33, -v35, v30, 1.0
	v_fmac_f32_e32 v30, v33, v30
	v_mul_f32_e32 v17, v31, v30
	v_fma_f32 v33, -v35, v17, v31
	v_fmac_f32_e32 v17, v33, v30
	v_div_scale_f32 v33, s[2:3], v1, v18, v1
	v_rcp_f32_e32 v37, v32
	v_fma_f32 v31, -v35, v17, v31
	v_div_fmas_f32 v17, v31, v30, v17
	s_mov_b64 vcc, s[0:1]
	v_fma_f32 v30, -v32, v37, 1.0
	v_fmac_f32_e32 v37, v30, v37
	v_mul_f32_e32 v30, v36, v37
	v_fma_f32 v31, -v32, v30, v36
	v_fmac_f32_e32 v30, v31, v37
	v_rcp_f32_e32 v31, v16
	v_fma_f32 v32, -v32, v30, v36
	v_div_fmas_f32 v30, v32, v37, v30
	s_mov_b64 vcc, s[2:3]
	v_fma_f32 v32, -v16, v31, 1.0
	v_fmac_f32_e32 v31, v32, v31
	v_mul_f32_e32 v32, v33, v31
	v_fma_f32 v35, -v16, v32, v33
	v_fmac_f32_e32 v32, v35, v31
	v_fma_f32 v16, -v16, v32, v33
	v_div_fmas_f32 v16, v16, v31, v32
	v_cmp_gt_f32_e32 vcc, v2, v15
	v_cndmask_b32_e32 v2, v2, v15, vcc
	v_cmp_lt_f32_e32 vcc, v3, v14
	s_waitcnt lgkmcnt(0)
	v_add_f32_e32 v8, v11, v8
	v_div_fixup_f32 v11, v17, v34, v25
	v_cndmask_b32_e32 v3, v3, v14, vcc
	v_div_fixup_f32 v14, v20, v18, v19
	v_add_f32_e32 v9, v9, v13
	v_div_fixup_f32 v13, v26, v27, v21
	v_add_f32_e32 v10, v10, v12
	v_add_f32_e32 v8, v8, v11
	v_div_fixup_f32 v11, v30, v27, v22
	v_add_f32_e32 v4, v4, v14
	v_div_fixup_f32 v14, v23, v18, v24
	;; [unrolled: 2-line block ×4, first 2 shown]
	v_add_f32_e32 v9, v9, v14
	v_add_f32_e32 v10, v12, v10
	;; [unrolled: 1-line block ×3, first 2 shown]
	v_mov_b32_e32 v1, v18
.LBB13_105:
	s_or_b64 exec, exec, s[8:9]
	v_cmp_gt_u32_e32 vcc, 62, v6
	s_waitcnt lgkmcnt(0)
	v_cndmask_b32_e64 v8, 0, 2, vcc
	v_add_lshl_u32 v8, v8, v5, 2
	ds_bpermute_b32 v14, v8, v1
	ds_bpermute_b32 v16, v8, v2
	;; [unrolled: 1-line block ×7, first 2 shown]
	v_add_u32_e32 v18, 2, v6
	v_cmp_lt_u32_e32 vcc, v18, v7
	s_and_saveexec_b64 s[8:9], vcc
	s_cbranch_execz .LBB13_107
; %bb.106:
	s_waitcnt lgkmcnt(3)
	v_sub_f32_e32 v17, v17, v4
	v_add_f32_e32 v18, v1, v14
	v_mul_f32_e32 v19, v17, v14
	v_div_scale_f32 v20, s[0:1], v18, v18, v19
	v_cmp_gt_f32_e64 s[0:1], v2, v16
	v_cndmask_b32_e64 v2, v2, v16, s[0:1]
	v_mul_f32_e32 v16, v17, v17
	v_div_scale_f32 v21, vcc, v19, v18, v19
	v_mul_f32_e32 v23, v1, v16
	v_cmp_lt_f32_e64 s[0:1], v3, v15
	v_mul_f32_e32 v23, v23, v14
	v_cndmask_b32_e64 v3, v3, v15, s[0:1]
	v_div_scale_f32 v25, s[0:1], v18, v18, v23
	v_div_scale_f32 v30, s[0:1], v23, v18, v23
	v_mul_f32_e32 v26, v17, v16
	v_rcp_f32_e32 v24, v20
	v_mul_f32_e32 v27, v17, v26
	v_mul_f32_e32 v26, v1, v26
	;; [unrolled: 1-line block ×3, first 2 shown]
	v_fma_f32 v28, -v20, v24, 1.0
	v_fmac_f32_e32 v24, v28, v24
	v_mul_f32_e32 v28, v21, v24
	v_fma_f32 v29, -v20, v28, v21
	v_fmac_f32_e32 v28, v29, v24
	v_sub_f32_e32 v31, v1, v14
	v_mul_f32_e32 v15, v18, v18
	v_rcp_f32_e32 v29, v25
	v_mul_f32_e32 v26, v31, v26
	v_fma_f32 v20, -v20, v28, v21
	v_div_scale_f32 v31, s[2:3], v15, v15, v26
	v_fma_f32 v21, -v25, v29, 1.0
	v_fmac_f32_e32 v29, v21, v29
	v_div_fmas_f32 v20, v20, v24, v28
	v_mul_f32_e32 v24, v30, v29
	v_fma_f32 v28, -v25, v24, v30
	v_fmac_f32_e32 v24, v28, v29
	v_fma_f32 v25, -v25, v24, v30
	s_mov_b64 vcc, s[0:1]
	v_div_fmas_f32 v24, v25, v29, v24
	v_mul_f32_e32 v29, v9, v14
	v_div_scale_f32 v21, s[2:3], v26, v15, v26
	v_mul_f32_e32 v28, 0x40400000, v17
	s_waitcnt lgkmcnt(2)
	v_fma_f32 v29, v1, v13, -v29
	v_mul_f32_e32 v28, v28, v29
	v_div_scale_f32 v29, s[0:1], v18, v18, v28
	v_div_scale_f32 v32, s[0:1], v28, v18, v28
	v_rcp_f32_e32 v25, v31
	v_mul_f32_e32 v33, v1, v1
	v_mul_f32_e32 v27, v1, v27
	v_fma_f32 v34, -v1, v14, v33
	v_fma_f32 v30, -v31, v25, 1.0
	v_fmac_f32_e32 v25, v30, v25
	v_mul_f32_e32 v27, v27, v14
	v_mul_f32_e32 v30, v21, v25
	v_fma_f32 v35, -v31, v30, v21
	v_fmac_f32_e32 v30, v35, v25
	v_fmac_f32_e32 v34, v14, v14
	v_mul_f32_e32 v22, v18, v15
	v_rcp_f32_e32 v35, v29
	v_mul_f32_e32 v27, v34, v27
	v_fma_f32 v21, -v31, v30, v21
	s_mov_b64 vcc, s[2:3]
	v_div_scale_f32 v34, s[12:13], v22, v22, v27
	v_div_fmas_f32 v21, v21, v25, v30
	v_fma_f32 v25, -v29, v35, 1.0
	v_fmac_f32_e32 v35, v25, v35
	v_mul_f32_e32 v25, v32, v35
	v_fma_f32 v30, -v29, v25, v32
	v_fmac_f32_e32 v25, v30, v35
	v_fma_f32 v29, -v29, v25, v32
	s_mov_b64 vcc, s[0:1]
	v_div_fmas_f32 v25, v29, v35, v25
	v_div_scale_f32 v31, vcc, v27, v22, v27
	v_mul_f32_e32 v29, v14, v14
	v_mul_f32_e32 v32, v33, v13
	v_mul_f32_e32 v16, 0x40c00000, v16
	v_fmac_f32_e32 v32, v9, v29
	v_mul_f32_e32 v16, v16, v32
	v_div_scale_f32 v29, s[0:1], v15, v15, v16
	v_mul_f32_e32 v14, v10, v14
	v_rcp_f32_e32 v30, v34
	v_div_scale_f32 v33, s[0:1], v16, v15, v16
	v_mul_f32_e32 v17, 4.0, v17
	s_waitcnt lgkmcnt(1)
	v_fma_f32 v1, v1, v12, -v14
	v_mul_f32_e32 v1, v17, v1
	v_div_scale_f32 v14, s[2:3], v18, v18, v1
	v_fma_f32 v32, -v34, v30, 1.0
	v_fmac_f32_e32 v30, v32, v30
	v_mul_f32_e32 v17, v31, v30
	v_fma_f32 v32, -v34, v17, v31
	v_fmac_f32_e32 v17, v32, v30
	v_div_scale_f32 v32, s[2:3], v1, v18, v1
	v_rcp_f32_e32 v35, v29
	v_fma_f32 v31, -v34, v17, v31
	v_div_fmas_f32 v17, v31, v30, v17
	s_mov_b64 vcc, s[0:1]
	v_fma_f32 v30, -v29, v35, 1.0
	v_fmac_f32_e32 v35, v30, v35
	v_mul_f32_e32 v30, v33, v35
	v_fma_f32 v31, -v29, v30, v33
	v_fmac_f32_e32 v30, v31, v35
	v_rcp_f32_e32 v31, v14
	v_fma_f32 v29, -v29, v30, v33
	v_div_fmas_f32 v29, v29, v35, v30
	s_mov_b64 vcc, s[2:3]
	v_fma_f32 v30, -v14, v31, 1.0
	v_fmac_f32_e32 v31, v30, v31
	v_mul_f32_e32 v30, v32, v31
	v_fma_f32 v33, -v14, v30, v32
	v_fmac_f32_e32 v30, v33, v31
	v_fma_f32 v14, -v14, v30, v32
	v_div_fmas_f32 v14, v14, v31, v30
	s_waitcnt lgkmcnt(0)
	v_add_f32_e32 v8, v11, v8
	v_div_fixup_f32 v11, v17, v22, v27
	v_add_f32_e32 v10, v10, v12
	v_div_fixup_f32 v12, v21, v15, v26
	;; [unrolled: 2-line block ×4, first 2 shown]
	v_div_fixup_f32 v13, v24, v18, v23
	v_add_f32_e32 v10, v10, v12
	v_div_fixup_f32 v12, v25, v18, v28
	v_add_f32_e32 v8, v11, v8
	v_add_f32_e32 v4, v4, v19
	;; [unrolled: 1-line block ×4, first 2 shown]
	v_div_fixup_f32 v1, v14, v18, v1
	v_add_f32_e32 v11, v1, v8
	v_mov_b32_e32 v1, v18
.LBB13_107:
	s_or_b64 exec, exec, s[8:9]
	v_cmp_gt_u32_e32 vcc, 60, v6
	s_waitcnt lgkmcnt(0)
	v_cndmask_b32_e64 v8, 0, 4, vcc
	v_add_lshl_u32 v8, v8, v5, 2
	ds_bpermute_b32 v14, v8, v1
	ds_bpermute_b32 v16, v8, v2
	;; [unrolled: 1-line block ×7, first 2 shown]
	v_add_u32_e32 v18, 4, v6
	v_cmp_lt_u32_e32 vcc, v18, v7
	s_and_saveexec_b64 s[8:9], vcc
	s_cbranch_execz .LBB13_109
; %bb.108:
	s_waitcnt lgkmcnt(3)
	v_sub_f32_e32 v17, v17, v4
	v_add_f32_e32 v18, v1, v14
	v_mul_f32_e32 v19, v17, v14
	v_div_scale_f32 v20, s[0:1], v18, v18, v19
	v_cmp_gt_f32_e64 s[0:1], v2, v16
	v_cndmask_b32_e64 v2, v2, v16, s[0:1]
	v_mul_f32_e32 v16, v17, v17
	v_div_scale_f32 v21, vcc, v19, v18, v19
	v_mul_f32_e32 v23, v1, v16
	v_cmp_lt_f32_e64 s[0:1], v3, v15
	v_mul_f32_e32 v23, v23, v14
	v_cndmask_b32_e64 v3, v3, v15, s[0:1]
	v_div_scale_f32 v25, s[0:1], v18, v18, v23
	v_div_scale_f32 v30, s[0:1], v23, v18, v23
	v_mul_f32_e32 v26, v17, v16
	v_rcp_f32_e32 v24, v20
	v_mul_f32_e32 v27, v17, v26
	v_mul_f32_e32 v26, v1, v26
	;; [unrolled: 1-line block ×3, first 2 shown]
	v_fma_f32 v28, -v20, v24, 1.0
	v_fmac_f32_e32 v24, v28, v24
	v_mul_f32_e32 v28, v21, v24
	v_fma_f32 v29, -v20, v28, v21
	v_fmac_f32_e32 v28, v29, v24
	v_sub_f32_e32 v31, v1, v14
	v_mul_f32_e32 v15, v18, v18
	v_rcp_f32_e32 v29, v25
	v_mul_f32_e32 v26, v31, v26
	v_fma_f32 v20, -v20, v28, v21
	v_div_scale_f32 v31, s[2:3], v15, v15, v26
	v_fma_f32 v21, -v25, v29, 1.0
	v_fmac_f32_e32 v29, v21, v29
	v_div_fmas_f32 v20, v20, v24, v28
	v_mul_f32_e32 v24, v30, v29
	v_fma_f32 v28, -v25, v24, v30
	v_fmac_f32_e32 v24, v28, v29
	v_fma_f32 v25, -v25, v24, v30
	s_mov_b64 vcc, s[0:1]
	v_div_fmas_f32 v24, v25, v29, v24
	v_mul_f32_e32 v29, v9, v14
	v_div_scale_f32 v21, s[2:3], v26, v15, v26
	v_mul_f32_e32 v28, 0x40400000, v17
	s_waitcnt lgkmcnt(2)
	v_fma_f32 v29, v1, v13, -v29
	v_mul_f32_e32 v28, v28, v29
	v_div_scale_f32 v29, s[0:1], v18, v18, v28
	v_div_scale_f32 v32, s[0:1], v28, v18, v28
	v_rcp_f32_e32 v25, v31
	v_mul_f32_e32 v33, v1, v1
	v_mul_f32_e32 v27, v1, v27
	v_fma_f32 v34, -v1, v14, v33
	v_fma_f32 v30, -v31, v25, 1.0
	v_fmac_f32_e32 v25, v30, v25
	v_mul_f32_e32 v27, v27, v14
	v_mul_f32_e32 v30, v21, v25
	v_fma_f32 v35, -v31, v30, v21
	v_fmac_f32_e32 v30, v35, v25
	v_fmac_f32_e32 v34, v14, v14
	v_mul_f32_e32 v22, v18, v15
	v_rcp_f32_e32 v35, v29
	v_mul_f32_e32 v27, v34, v27
	v_fma_f32 v21, -v31, v30, v21
	s_mov_b64 vcc, s[2:3]
	v_div_scale_f32 v34, s[12:13], v22, v22, v27
	v_div_fmas_f32 v21, v21, v25, v30
	v_fma_f32 v25, -v29, v35, 1.0
	v_fmac_f32_e32 v35, v25, v35
	v_mul_f32_e32 v25, v32, v35
	v_fma_f32 v30, -v29, v25, v32
	v_fmac_f32_e32 v25, v30, v35
	v_fma_f32 v29, -v29, v25, v32
	s_mov_b64 vcc, s[0:1]
	v_div_fmas_f32 v25, v29, v35, v25
	v_div_scale_f32 v31, vcc, v27, v22, v27
	v_mul_f32_e32 v29, v14, v14
	v_mul_f32_e32 v32, v33, v13
	;; [unrolled: 1-line block ×3, first 2 shown]
	v_fmac_f32_e32 v32, v9, v29
	v_mul_f32_e32 v16, v16, v32
	v_div_scale_f32 v29, s[0:1], v15, v15, v16
	v_mul_f32_e32 v14, v10, v14
	v_rcp_f32_e32 v30, v34
	v_div_scale_f32 v33, s[0:1], v16, v15, v16
	v_mul_f32_e32 v17, 4.0, v17
	s_waitcnt lgkmcnt(1)
	v_fma_f32 v1, v1, v12, -v14
	v_mul_f32_e32 v1, v17, v1
	v_div_scale_f32 v14, s[2:3], v18, v18, v1
	v_fma_f32 v32, -v34, v30, 1.0
	v_fmac_f32_e32 v30, v32, v30
	v_mul_f32_e32 v17, v31, v30
	v_fma_f32 v32, -v34, v17, v31
	v_fmac_f32_e32 v17, v32, v30
	v_div_scale_f32 v32, s[2:3], v1, v18, v1
	v_rcp_f32_e32 v35, v29
	v_fma_f32 v31, -v34, v17, v31
	v_div_fmas_f32 v17, v31, v30, v17
	s_mov_b64 vcc, s[0:1]
	v_fma_f32 v30, -v29, v35, 1.0
	v_fmac_f32_e32 v35, v30, v35
	v_mul_f32_e32 v30, v33, v35
	v_fma_f32 v31, -v29, v30, v33
	v_fmac_f32_e32 v30, v31, v35
	v_rcp_f32_e32 v31, v14
	v_fma_f32 v29, -v29, v30, v33
	v_div_fmas_f32 v29, v29, v35, v30
	s_mov_b64 vcc, s[2:3]
	v_fma_f32 v30, -v14, v31, 1.0
	v_fmac_f32_e32 v31, v30, v31
	v_mul_f32_e32 v30, v32, v31
	v_fma_f32 v33, -v14, v30, v32
	v_fmac_f32_e32 v30, v33, v31
	v_fma_f32 v14, -v14, v30, v32
	v_div_fmas_f32 v14, v14, v31, v30
	s_waitcnt lgkmcnt(0)
	v_add_f32_e32 v8, v11, v8
	v_div_fixup_f32 v11, v17, v22, v27
	v_add_f32_e32 v10, v10, v12
	v_div_fixup_f32 v12, v21, v15, v26
	;; [unrolled: 2-line block ×4, first 2 shown]
	v_div_fixup_f32 v13, v24, v18, v23
	v_add_f32_e32 v10, v10, v12
	v_div_fixup_f32 v12, v25, v18, v28
	v_add_f32_e32 v8, v11, v8
	v_add_f32_e32 v4, v4, v19
	;; [unrolled: 1-line block ×4, first 2 shown]
	v_div_fixup_f32 v1, v14, v18, v1
	v_add_f32_e32 v11, v1, v8
	v_mov_b32_e32 v1, v18
.LBB13_109:
	s_or_b64 exec, exec, s[8:9]
	v_cmp_gt_u32_e32 vcc, 56, v6
	s_waitcnt lgkmcnt(0)
	v_cndmask_b32_e64 v8, 0, 8, vcc
	v_add_lshl_u32 v8, v8, v5, 2
	ds_bpermute_b32 v14, v8, v1
	ds_bpermute_b32 v16, v8, v2
	;; [unrolled: 1-line block ×7, first 2 shown]
	v_add_u32_e32 v18, 8, v6
	v_cmp_lt_u32_e32 vcc, v18, v7
	s_and_saveexec_b64 s[8:9], vcc
	s_cbranch_execz .LBB13_111
; %bb.110:
	s_waitcnt lgkmcnt(3)
	v_sub_f32_e32 v17, v17, v4
	v_add_f32_e32 v18, v1, v14
	v_mul_f32_e32 v19, v17, v14
	v_div_scale_f32 v20, s[0:1], v18, v18, v19
	v_cmp_gt_f32_e64 s[0:1], v2, v16
	v_cndmask_b32_e64 v2, v2, v16, s[0:1]
	v_mul_f32_e32 v16, v17, v17
	v_div_scale_f32 v21, vcc, v19, v18, v19
	v_mul_f32_e32 v23, v1, v16
	v_cmp_lt_f32_e64 s[0:1], v3, v15
	v_mul_f32_e32 v23, v23, v14
	v_cndmask_b32_e64 v3, v3, v15, s[0:1]
	v_div_scale_f32 v25, s[0:1], v18, v18, v23
	v_div_scale_f32 v30, s[0:1], v23, v18, v23
	v_mul_f32_e32 v26, v17, v16
	v_rcp_f32_e32 v24, v20
	v_mul_f32_e32 v27, v17, v26
	v_mul_f32_e32 v26, v1, v26
	;; [unrolled: 1-line block ×3, first 2 shown]
	v_fma_f32 v28, -v20, v24, 1.0
	v_fmac_f32_e32 v24, v28, v24
	v_mul_f32_e32 v28, v21, v24
	v_fma_f32 v29, -v20, v28, v21
	v_fmac_f32_e32 v28, v29, v24
	v_sub_f32_e32 v31, v1, v14
	v_mul_f32_e32 v15, v18, v18
	v_rcp_f32_e32 v29, v25
	v_mul_f32_e32 v26, v31, v26
	v_fma_f32 v20, -v20, v28, v21
	v_div_scale_f32 v31, s[2:3], v15, v15, v26
	v_fma_f32 v21, -v25, v29, 1.0
	v_fmac_f32_e32 v29, v21, v29
	v_div_fmas_f32 v20, v20, v24, v28
	v_mul_f32_e32 v24, v30, v29
	v_fma_f32 v28, -v25, v24, v30
	v_fmac_f32_e32 v24, v28, v29
	v_fma_f32 v25, -v25, v24, v30
	s_mov_b64 vcc, s[0:1]
	v_div_fmas_f32 v24, v25, v29, v24
	v_mul_f32_e32 v29, v9, v14
	v_div_scale_f32 v21, s[2:3], v26, v15, v26
	v_mul_f32_e32 v28, 0x40400000, v17
	s_waitcnt lgkmcnt(2)
	v_fma_f32 v29, v1, v13, -v29
	v_mul_f32_e32 v28, v28, v29
	v_div_scale_f32 v29, s[0:1], v18, v18, v28
	v_div_scale_f32 v32, s[0:1], v28, v18, v28
	v_rcp_f32_e32 v25, v31
	v_mul_f32_e32 v33, v1, v1
	v_mul_f32_e32 v27, v1, v27
	v_fma_f32 v34, -v1, v14, v33
	v_fma_f32 v30, -v31, v25, 1.0
	v_fmac_f32_e32 v25, v30, v25
	v_mul_f32_e32 v27, v27, v14
	v_mul_f32_e32 v30, v21, v25
	v_fma_f32 v35, -v31, v30, v21
	v_fmac_f32_e32 v30, v35, v25
	v_fmac_f32_e32 v34, v14, v14
	v_mul_f32_e32 v22, v18, v15
	v_rcp_f32_e32 v35, v29
	v_mul_f32_e32 v27, v34, v27
	v_fma_f32 v21, -v31, v30, v21
	s_mov_b64 vcc, s[2:3]
	v_div_scale_f32 v34, s[12:13], v22, v22, v27
	v_div_fmas_f32 v21, v21, v25, v30
	v_fma_f32 v25, -v29, v35, 1.0
	v_fmac_f32_e32 v35, v25, v35
	v_mul_f32_e32 v25, v32, v35
	v_fma_f32 v30, -v29, v25, v32
	v_fmac_f32_e32 v25, v30, v35
	v_fma_f32 v29, -v29, v25, v32
	s_mov_b64 vcc, s[0:1]
	v_div_fmas_f32 v25, v29, v35, v25
	v_div_scale_f32 v31, vcc, v27, v22, v27
	v_mul_f32_e32 v29, v14, v14
	v_mul_f32_e32 v32, v33, v13
	v_mul_f32_e32 v16, 0x40c00000, v16
	v_fmac_f32_e32 v32, v9, v29
	v_mul_f32_e32 v16, v16, v32
	v_div_scale_f32 v29, s[0:1], v15, v15, v16
	v_mul_f32_e32 v14, v10, v14
	v_rcp_f32_e32 v30, v34
	v_div_scale_f32 v33, s[0:1], v16, v15, v16
	v_mul_f32_e32 v17, 4.0, v17
	s_waitcnt lgkmcnt(1)
	v_fma_f32 v1, v1, v12, -v14
	v_mul_f32_e32 v1, v17, v1
	v_div_scale_f32 v14, s[2:3], v18, v18, v1
	v_fma_f32 v32, -v34, v30, 1.0
	v_fmac_f32_e32 v30, v32, v30
	v_mul_f32_e32 v17, v31, v30
	v_fma_f32 v32, -v34, v17, v31
	v_fmac_f32_e32 v17, v32, v30
	v_div_scale_f32 v32, s[2:3], v1, v18, v1
	v_rcp_f32_e32 v35, v29
	v_fma_f32 v31, -v34, v17, v31
	v_div_fmas_f32 v17, v31, v30, v17
	s_mov_b64 vcc, s[0:1]
	v_fma_f32 v30, -v29, v35, 1.0
	v_fmac_f32_e32 v35, v30, v35
	v_mul_f32_e32 v30, v33, v35
	v_fma_f32 v31, -v29, v30, v33
	v_fmac_f32_e32 v30, v31, v35
	v_rcp_f32_e32 v31, v14
	v_fma_f32 v29, -v29, v30, v33
	v_div_fmas_f32 v29, v29, v35, v30
	s_mov_b64 vcc, s[2:3]
	v_fma_f32 v30, -v14, v31, 1.0
	v_fmac_f32_e32 v31, v30, v31
	v_mul_f32_e32 v30, v32, v31
	v_fma_f32 v33, -v14, v30, v32
	v_fmac_f32_e32 v30, v33, v31
	v_fma_f32 v14, -v14, v30, v32
	v_div_fmas_f32 v14, v14, v31, v30
	s_waitcnt lgkmcnt(0)
	v_add_f32_e32 v8, v11, v8
	v_div_fixup_f32 v11, v17, v22, v27
	v_add_f32_e32 v10, v10, v12
	v_div_fixup_f32 v12, v21, v15, v26
	;; [unrolled: 2-line block ×4, first 2 shown]
	v_div_fixup_f32 v13, v24, v18, v23
	v_add_f32_e32 v10, v10, v12
	v_div_fixup_f32 v12, v25, v18, v28
	v_add_f32_e32 v8, v11, v8
	v_add_f32_e32 v4, v4, v19
	;; [unrolled: 1-line block ×4, first 2 shown]
	v_div_fixup_f32 v1, v14, v18, v1
	v_add_f32_e32 v11, v1, v8
	v_mov_b32_e32 v1, v18
.LBB13_111:
	s_or_b64 exec, exec, s[8:9]
	v_cmp_gt_u32_e32 vcc, 48, v6
	s_waitcnt lgkmcnt(0)
	v_cndmask_b32_e64 v8, 0, 16, vcc
	v_add_lshl_u32 v8, v8, v5, 2
	ds_bpermute_b32 v14, v8, v1
	ds_bpermute_b32 v16, v8, v2
	;; [unrolled: 1-line block ×7, first 2 shown]
	v_add_u32_e32 v18, 16, v6
	v_cmp_lt_u32_e32 vcc, v18, v7
	s_and_saveexec_b64 s[8:9], vcc
	s_cbranch_execz .LBB13_113
; %bb.112:
	s_waitcnt lgkmcnt(3)
	v_sub_f32_e32 v17, v17, v4
	v_add_f32_e32 v18, v1, v14
	v_mul_f32_e32 v19, v17, v14
	v_div_scale_f32 v20, s[0:1], v18, v18, v19
	v_cmp_gt_f32_e64 s[0:1], v2, v16
	v_cndmask_b32_e64 v2, v2, v16, s[0:1]
	v_mul_f32_e32 v16, v17, v17
	v_div_scale_f32 v21, vcc, v19, v18, v19
	v_mul_f32_e32 v23, v1, v16
	v_cmp_lt_f32_e64 s[0:1], v3, v15
	v_mul_f32_e32 v23, v23, v14
	v_cndmask_b32_e64 v3, v3, v15, s[0:1]
	v_div_scale_f32 v25, s[0:1], v18, v18, v23
	v_div_scale_f32 v30, s[0:1], v23, v18, v23
	v_mul_f32_e32 v26, v17, v16
	v_rcp_f32_e32 v24, v20
	v_mul_f32_e32 v27, v17, v26
	v_mul_f32_e32 v26, v1, v26
	;; [unrolled: 1-line block ×3, first 2 shown]
	v_fma_f32 v28, -v20, v24, 1.0
	v_fmac_f32_e32 v24, v28, v24
	v_mul_f32_e32 v28, v21, v24
	v_fma_f32 v29, -v20, v28, v21
	v_fmac_f32_e32 v28, v29, v24
	v_sub_f32_e32 v31, v1, v14
	v_mul_f32_e32 v15, v18, v18
	v_rcp_f32_e32 v29, v25
	v_mul_f32_e32 v26, v31, v26
	v_fma_f32 v20, -v20, v28, v21
	v_div_scale_f32 v31, s[2:3], v15, v15, v26
	v_fma_f32 v21, -v25, v29, 1.0
	v_fmac_f32_e32 v29, v21, v29
	v_div_fmas_f32 v20, v20, v24, v28
	v_mul_f32_e32 v24, v30, v29
	v_fma_f32 v28, -v25, v24, v30
	v_fmac_f32_e32 v24, v28, v29
	v_fma_f32 v25, -v25, v24, v30
	s_mov_b64 vcc, s[0:1]
	v_div_fmas_f32 v24, v25, v29, v24
	v_mul_f32_e32 v29, v9, v14
	v_div_scale_f32 v21, s[2:3], v26, v15, v26
	v_mul_f32_e32 v28, 0x40400000, v17
	s_waitcnt lgkmcnt(2)
	v_fma_f32 v29, v1, v13, -v29
	v_mul_f32_e32 v28, v28, v29
	v_div_scale_f32 v29, s[0:1], v18, v18, v28
	v_div_scale_f32 v32, s[0:1], v28, v18, v28
	v_rcp_f32_e32 v25, v31
	v_mul_f32_e32 v33, v1, v1
	v_mul_f32_e32 v27, v1, v27
	v_fma_f32 v34, -v1, v14, v33
	v_fma_f32 v30, -v31, v25, 1.0
	v_fmac_f32_e32 v25, v30, v25
	v_mul_f32_e32 v27, v27, v14
	v_mul_f32_e32 v30, v21, v25
	v_fma_f32 v35, -v31, v30, v21
	v_fmac_f32_e32 v30, v35, v25
	v_fmac_f32_e32 v34, v14, v14
	v_mul_f32_e32 v22, v18, v15
	v_rcp_f32_e32 v35, v29
	v_mul_f32_e32 v27, v34, v27
	v_fma_f32 v21, -v31, v30, v21
	s_mov_b64 vcc, s[2:3]
	v_div_scale_f32 v34, s[12:13], v22, v22, v27
	v_div_fmas_f32 v21, v21, v25, v30
	v_fma_f32 v25, -v29, v35, 1.0
	v_fmac_f32_e32 v35, v25, v35
	v_mul_f32_e32 v25, v32, v35
	v_fma_f32 v30, -v29, v25, v32
	v_fmac_f32_e32 v25, v30, v35
	v_fma_f32 v29, -v29, v25, v32
	s_mov_b64 vcc, s[0:1]
	v_div_fmas_f32 v25, v29, v35, v25
	v_div_scale_f32 v31, vcc, v27, v22, v27
	v_mul_f32_e32 v29, v14, v14
	v_mul_f32_e32 v32, v33, v13
	;; [unrolled: 1-line block ×3, first 2 shown]
	v_fmac_f32_e32 v32, v9, v29
	v_mul_f32_e32 v16, v16, v32
	v_div_scale_f32 v29, s[0:1], v15, v15, v16
	v_mul_f32_e32 v14, v10, v14
	v_rcp_f32_e32 v30, v34
	v_div_scale_f32 v33, s[0:1], v16, v15, v16
	v_mul_f32_e32 v17, 4.0, v17
	s_waitcnt lgkmcnt(1)
	v_fma_f32 v1, v1, v12, -v14
	v_mul_f32_e32 v1, v17, v1
	v_div_scale_f32 v14, s[2:3], v18, v18, v1
	v_fma_f32 v32, -v34, v30, 1.0
	v_fmac_f32_e32 v30, v32, v30
	v_mul_f32_e32 v17, v31, v30
	v_fma_f32 v32, -v34, v17, v31
	v_fmac_f32_e32 v17, v32, v30
	v_div_scale_f32 v32, s[2:3], v1, v18, v1
	v_rcp_f32_e32 v35, v29
	v_fma_f32 v31, -v34, v17, v31
	v_div_fmas_f32 v17, v31, v30, v17
	s_mov_b64 vcc, s[0:1]
	v_fma_f32 v30, -v29, v35, 1.0
	v_fmac_f32_e32 v35, v30, v35
	v_mul_f32_e32 v30, v33, v35
	v_fma_f32 v31, -v29, v30, v33
	v_fmac_f32_e32 v30, v31, v35
	v_rcp_f32_e32 v31, v14
	v_fma_f32 v29, -v29, v30, v33
	v_div_fmas_f32 v29, v29, v35, v30
	s_mov_b64 vcc, s[2:3]
	v_fma_f32 v30, -v14, v31, 1.0
	v_fmac_f32_e32 v31, v30, v31
	v_mul_f32_e32 v30, v32, v31
	v_fma_f32 v33, -v14, v30, v32
	v_fmac_f32_e32 v30, v33, v31
	v_fma_f32 v14, -v14, v30, v32
	v_div_fmas_f32 v14, v14, v31, v30
	s_waitcnt lgkmcnt(0)
	v_add_f32_e32 v8, v11, v8
	v_div_fixup_f32 v11, v17, v22, v27
	v_add_f32_e32 v10, v10, v12
	v_div_fixup_f32 v12, v21, v15, v26
	;; [unrolled: 2-line block ×4, first 2 shown]
	v_div_fixup_f32 v13, v24, v18, v23
	v_add_f32_e32 v10, v10, v12
	v_div_fixup_f32 v12, v25, v18, v28
	v_add_f32_e32 v8, v11, v8
	v_add_f32_e32 v4, v4, v19
	;; [unrolled: 1-line block ×4, first 2 shown]
	v_div_fixup_f32 v1, v14, v18, v1
	v_add_f32_e32 v11, v1, v8
	v_mov_b32_e32 v1, v18
.LBB13_113:
	s_or_b64 exec, exec, s[8:9]
	s_waitcnt lgkmcnt(0)
	v_lshlrev_b32_e32 v8, 2, v5
	v_or_b32_e32 v12, 0x80, v8
	ds_bpermute_b32 v15, v12, v1
	ds_bpermute_b32 v17, v12, v2
	;; [unrolled: 1-line block ×7, first 2 shown]
	v_add_u32_e32 v6, 32, v6
	v_cmp_lt_u32_e32 vcc, v6, v7
	s_and_saveexec_b64 s[8:9], vcc
	s_cbranch_execz .LBB13_115
; %bb.114:
	s_waitcnt lgkmcnt(3)
	v_sub_f32_e32 v7, v18, v4
	v_add_f32_e32 v6, v1, v15
	v_mul_f32_e32 v18, v7, v15
	v_div_scale_f32 v19, s[0:1], v6, v6, v18
	v_cmp_gt_f32_e64 s[0:1], v2, v17
	v_cndmask_b32_e64 v2, v2, v17, s[0:1]
	v_mul_f32_e32 v17, v7, v7
	v_div_scale_f32 v20, vcc, v18, v6, v18
	v_mul_f32_e32 v22, v1, v17
	v_cmp_lt_f32_e64 s[0:1], v3, v16
	v_mul_f32_e32 v22, v22, v15
	v_cndmask_b32_e64 v3, v3, v16, s[0:1]
	v_div_scale_f32 v24, s[0:1], v6, v6, v22
	v_div_scale_f32 v29, s[0:1], v22, v6, v22
	v_mul_f32_e32 v25, v7, v17
	v_rcp_f32_e32 v23, v19
	v_mul_f32_e32 v26, v7, v25
	v_mul_f32_e32 v25, v1, v25
	;; [unrolled: 1-line block ×3, first 2 shown]
	v_fma_f32 v27, -v19, v23, 1.0
	v_fmac_f32_e32 v23, v27, v23
	v_mul_f32_e32 v27, v20, v23
	v_fma_f32 v28, -v19, v27, v20
	v_fmac_f32_e32 v27, v28, v23
	v_sub_f32_e32 v30, v1, v15
	v_mul_f32_e32 v16, v6, v6
	v_rcp_f32_e32 v28, v24
	v_mul_f32_e32 v25, v30, v25
	v_fma_f32 v19, -v19, v27, v20
	v_div_scale_f32 v30, s[2:3], v16, v16, v25
	v_fma_f32 v20, -v24, v28, 1.0
	v_fmac_f32_e32 v28, v20, v28
	v_div_fmas_f32 v19, v19, v23, v27
	v_mul_f32_e32 v23, v29, v28
	v_fma_f32 v27, -v24, v23, v29
	v_fmac_f32_e32 v23, v27, v28
	v_fma_f32 v24, -v24, v23, v29
	s_mov_b64 vcc, s[0:1]
	v_div_fmas_f32 v23, v24, v28, v23
	v_mul_f32_e32 v28, v9, v15
	v_div_scale_f32 v20, s[2:3], v25, v16, v25
	v_mul_f32_e32 v27, 0x40400000, v7
	s_waitcnt lgkmcnt(2)
	v_fma_f32 v28, v1, v14, -v28
	v_mul_f32_e32 v27, v27, v28
	v_div_scale_f32 v28, s[0:1], v6, v6, v27
	v_div_scale_f32 v31, s[0:1], v27, v6, v27
	v_rcp_f32_e32 v24, v30
	v_mul_f32_e32 v32, v1, v1
	v_mul_f32_e32 v26, v1, v26
	v_fma_f32 v33, -v1, v15, v32
	v_fma_f32 v29, -v30, v24, 1.0
	v_fmac_f32_e32 v24, v29, v24
	v_mul_f32_e32 v26, v26, v15
	v_mul_f32_e32 v29, v20, v24
	v_fma_f32 v34, -v30, v29, v20
	v_fmac_f32_e32 v29, v34, v24
	v_fmac_f32_e32 v33, v15, v15
	v_mul_f32_e32 v21, v6, v16
	v_rcp_f32_e32 v34, v28
	v_mul_f32_e32 v26, v33, v26
	v_fma_f32 v20, -v30, v29, v20
	s_mov_b64 vcc, s[2:3]
	v_div_scale_f32 v33, s[12:13], v21, v21, v26
	v_div_fmas_f32 v20, v20, v24, v29
	v_fma_f32 v24, -v28, v34, 1.0
	v_fmac_f32_e32 v34, v24, v34
	v_mul_f32_e32 v24, v31, v34
	v_fma_f32 v29, -v28, v24, v31
	v_fmac_f32_e32 v24, v29, v34
	v_fma_f32 v28, -v28, v24, v31
	s_mov_b64 vcc, s[0:1]
	v_div_fmas_f32 v24, v28, v34, v24
	v_div_scale_f32 v30, vcc, v26, v21, v26
	v_mul_f32_e32 v28, v15, v15
	v_mul_f32_e32 v31, v32, v14
	;; [unrolled: 1-line block ×3, first 2 shown]
	v_fmac_f32_e32 v31, v9, v28
	v_mul_f32_e32 v17, v17, v31
	v_div_scale_f32 v28, s[0:1], v16, v16, v17
	v_mul_f32_e32 v15, v10, v15
	v_rcp_f32_e32 v29, v33
	v_div_scale_f32 v32, s[0:1], v17, v16, v17
	v_mul_f32_e32 v7, 4.0, v7
	s_waitcnt lgkmcnt(1)
	v_fma_f32 v1, v1, v13, -v15
	v_mul_f32_e32 v1, v7, v1
	v_div_scale_f32 v7, s[2:3], v6, v6, v1
	v_fma_f32 v31, -v33, v29, 1.0
	v_fmac_f32_e32 v29, v31, v29
	v_mul_f32_e32 v15, v30, v29
	v_fma_f32 v31, -v33, v15, v30
	v_fmac_f32_e32 v15, v31, v29
	v_div_scale_f32 v31, s[2:3], v1, v6, v1
	v_rcp_f32_e32 v34, v28
	v_fma_f32 v30, -v33, v15, v30
	v_div_fmas_f32 v15, v30, v29, v15
	s_mov_b64 vcc, s[0:1]
	v_fma_f32 v29, -v28, v34, 1.0
	v_fmac_f32_e32 v34, v29, v34
	v_mul_f32_e32 v29, v32, v34
	v_fma_f32 v30, -v28, v29, v32
	v_fmac_f32_e32 v29, v30, v34
	v_rcp_f32_e32 v30, v7
	v_fma_f32 v28, -v28, v29, v32
	v_div_fmas_f32 v28, v28, v34, v29
	s_mov_b64 vcc, s[2:3]
	v_fma_f32 v29, -v7, v30, 1.0
	v_fmac_f32_e32 v30, v29, v30
	v_mul_f32_e32 v29, v31, v30
	v_fma_f32 v32, -v7, v29, v31
	v_fmac_f32_e32 v29, v32, v30
	v_fma_f32 v7, -v7, v29, v31
	v_div_fmas_f32 v7, v7, v30, v29
	s_waitcnt lgkmcnt(0)
	v_add_f32_e32 v11, v11, v12
	v_div_fixup_f32 v12, v15, v21, v26
	v_add_f32_e32 v10, v10, v13
	v_div_fixup_f32 v13, v20, v16, v25
	;; [unrolled: 2-line block ×4, first 2 shown]
	v_div_fixup_f32 v14, v23, v6, v22
	v_add_f32_e32 v10, v10, v13
	v_div_fixup_f32 v13, v24, v6, v27
	v_add_f32_e32 v11, v12, v11
	v_add_f32_e32 v4, v4, v18
	;; [unrolled: 1-line block ×4, first 2 shown]
	v_div_fixup_f32 v1, v7, v6, v1
	v_add_f32_e32 v11, v1, v11
	v_mov_b32_e32 v1, v6
.LBB13_115:
	s_or_b64 exec, exec, s[8:9]
	v_cmp_eq_u32_e32 vcc, 0, v5
	s_and_saveexec_b64 s[0:1], vcc
	s_cbranch_execz .LBB13_117
; %bb.116:
	v_lshrrev_b32_e32 v6, 6, v0
	v_mul_u32_u24_e32 v6, 28, v6
	ds_write2_b32 v6, v1, v2 offset1:1
	ds_write2_b32 v6, v3, v4 offset0:2 offset1:3
	ds_write2_b32 v6, v9, v10 offset0:4 offset1:5
	ds_write_b32 v6, v11 offset:24
.LBB13_117:
	s_or_b64 exec, exec, s[0:1]
	v_cmp_gt_u32_e32 vcc, 4, v0
	s_waitcnt lgkmcnt(0)
	s_barrier
	s_and_saveexec_b64 s[8:9], vcc
	s_cbranch_execz .LBB13_123
; %bb.118:
	v_mul_u32_u24_e32 v6, 28, v5
	ds_read2_b32 v[1:2], v6 offset1:1
	ds_read2_b32 v[3:4], v6 offset0:2 offset1:3
	ds_read2_b32 v[9:10], v6 offset0:4 offset1:5
	ds_read_b32 v11, v6 offset:24
	v_and_b32_e32 v6, 3, v5
	v_cmp_ne_u32_e32 vcc, 3, v6
	v_addc_co_u32_e32 v5, vcc, 0, v5, vcc
	v_lshlrev_b32_e32 v5, 2, v5
	s_waitcnt lgkmcnt(3)
	ds_bpermute_b32 v14, v5, v1
	ds_bpermute_b32 v18, v5, v2
	s_waitcnt lgkmcnt(4)
	ds_bpermute_b32 v17, v5, v3
	ds_bpermute_b32 v19, v5, v4
	;; [unrolled: 3-line block ×3, first 2 shown]
	s_waitcnt lgkmcnt(6)
	ds_bpermute_b32 v7, v5, v11
	s_add_i32 s10, s10, 63
	s_lshr_b32 s12, s10, 6
	v_add_u32_e32 v15, 1, v6
	v_cmp_gt_u32_e32 vcc, s12, v15
	v_mov_b32_e32 v16, v10
	v_mov_b32_e32 v15, v9
	;; [unrolled: 1-line block ×3, first 2 shown]
	s_and_saveexec_b64 s[10:11], vcc
	s_cbranch_execz .LBB13_120
; %bb.119:
	s_waitcnt lgkmcnt(3)
	v_sub_f32_e32 v15, v19, v4
	v_add_f32_e32 v5, v1, v14
	v_mul_f32_e32 v16, v15, v14
	v_div_scale_f32 v19, s[0:1], v5, v5, v16
	v_cmp_gt_f32_e64 s[0:1], v2, v18
	v_cndmask_b32_e64 v2, v2, v18, s[0:1]
	v_mul_f32_e32 v18, v15, v15
	v_div_scale_f32 v20, vcc, v16, v5, v16
	v_mul_f32_e32 v22, v1, v18
	v_cmp_lt_f32_e64 s[0:1], v3, v17
	v_mul_f32_e32 v22, v22, v14
	v_cndmask_b32_e64 v3, v3, v17, s[0:1]
	v_div_scale_f32 v24, s[0:1], v5, v5, v22
	v_div_scale_f32 v29, s[0:1], v22, v5, v22
	v_mul_f32_e32 v25, v15, v18
	v_rcp_f32_e32 v23, v19
	v_mul_f32_e32 v26, v15, v25
	v_mul_f32_e32 v25, v1, v25
	;; [unrolled: 1-line block ×3, first 2 shown]
	v_fma_f32 v27, -v19, v23, 1.0
	v_fmac_f32_e32 v23, v27, v23
	v_mul_f32_e32 v27, v20, v23
	v_fma_f32 v28, -v19, v27, v20
	v_fmac_f32_e32 v27, v28, v23
	v_sub_f32_e32 v30, v1, v14
	v_mul_f32_e32 v17, v5, v5
	v_rcp_f32_e32 v28, v24
	v_mul_f32_e32 v25, v30, v25
	v_fma_f32 v19, -v19, v27, v20
	v_div_scale_f32 v30, s[2:3], v17, v17, v25
	v_fma_f32 v20, -v24, v28, 1.0
	v_fmac_f32_e32 v28, v20, v28
	v_div_fmas_f32 v19, v19, v23, v27
	v_mul_f32_e32 v23, v29, v28
	v_fma_f32 v27, -v24, v23, v29
	v_fmac_f32_e32 v23, v27, v28
	v_fma_f32 v24, -v24, v23, v29
	s_mov_b64 vcc, s[0:1]
	v_div_fmas_f32 v23, v24, v28, v23
	v_mul_f32_e32 v28, v9, v14
	v_div_scale_f32 v20, s[2:3], v25, v17, v25
	v_mul_f32_e32 v27, 0x40400000, v15
	s_waitcnt lgkmcnt(2)
	v_fma_f32 v28, v1, v13, -v28
	v_mul_f32_e32 v27, v27, v28
	v_div_scale_f32 v28, s[0:1], v5, v5, v27
	v_div_scale_f32 v31, s[0:1], v27, v5, v27
	v_rcp_f32_e32 v24, v30
	v_mul_f32_e32 v32, v1, v1
	v_mul_f32_e32 v26, v1, v26
	v_fma_f32 v33, -v1, v14, v32
	v_fma_f32 v29, -v30, v24, 1.0
	v_fmac_f32_e32 v24, v29, v24
	v_mul_f32_e32 v26, v26, v14
	v_mul_f32_e32 v29, v20, v24
	v_fma_f32 v34, -v30, v29, v20
	v_fmac_f32_e32 v29, v34, v24
	v_fmac_f32_e32 v33, v14, v14
	v_mul_f32_e32 v21, v5, v17
	v_rcp_f32_e32 v34, v28
	v_mul_f32_e32 v26, v33, v26
	v_fma_f32 v20, -v30, v29, v20
	s_mov_b64 vcc, s[2:3]
	v_div_scale_f32 v33, s[14:15], v21, v21, v26
	v_div_fmas_f32 v20, v20, v24, v29
	v_fma_f32 v24, -v28, v34, 1.0
	v_fmac_f32_e32 v34, v24, v34
	v_mul_f32_e32 v24, v31, v34
	v_fma_f32 v29, -v28, v24, v31
	v_fmac_f32_e32 v24, v29, v34
	v_fma_f32 v28, -v28, v24, v31
	s_mov_b64 vcc, s[0:1]
	v_div_fmas_f32 v24, v28, v34, v24
	v_div_scale_f32 v30, vcc, v26, v21, v26
	v_mul_f32_e32 v28, v14, v14
	v_mul_f32_e32 v31, v32, v13
	;; [unrolled: 1-line block ×3, first 2 shown]
	v_fmac_f32_e32 v31, v9, v28
	v_mul_f32_e32 v18, v18, v31
	v_div_scale_f32 v28, s[0:1], v17, v17, v18
	v_mul_f32_e32 v14, v10, v14
	v_rcp_f32_e32 v29, v33
	v_div_scale_f32 v32, s[0:1], v18, v17, v18
	v_mul_f32_e32 v15, 4.0, v15
	s_waitcnt lgkmcnt(1)
	v_fma_f32 v1, v1, v12, -v14
	v_mul_f32_e32 v1, v15, v1
	v_div_scale_f32 v14, s[2:3], v5, v5, v1
	v_fma_f32 v31, -v33, v29, 1.0
	v_fmac_f32_e32 v29, v31, v29
	v_mul_f32_e32 v15, v30, v29
	v_fma_f32 v31, -v33, v15, v30
	v_fmac_f32_e32 v15, v31, v29
	v_div_scale_f32 v31, s[2:3], v1, v5, v1
	v_rcp_f32_e32 v34, v28
	v_fma_f32 v30, -v33, v15, v30
	v_div_fmas_f32 v29, v30, v29, v15
	s_mov_b64 vcc, s[0:1]
	v_fma_f32 v15, -v28, v34, 1.0
	v_fmac_f32_e32 v34, v15, v34
	v_mul_f32_e32 v15, v32, v34
	v_fma_f32 v30, -v28, v15, v32
	v_fmac_f32_e32 v15, v30, v34
	v_rcp_f32_e32 v30, v14
	v_fma_f32 v28, -v28, v15, v32
	v_div_fmas_f32 v28, v28, v34, v15
	s_mov_b64 vcc, s[2:3]
	v_fma_f32 v15, -v14, v30, 1.0
	v_fmac_f32_e32 v30, v15, v30
	v_mul_f32_e32 v15, v31, v30
	v_fma_f32 v32, -v14, v15, v31
	v_fmac_f32_e32 v15, v32, v30
	v_fma_f32 v14, -v14, v15, v31
	v_div_fmas_f32 v14, v14, v30, v15
	v_div_fixup_f32 v15, v19, v5, v16
	v_add_f32_e32 v9, v9, v13
	v_div_fixup_f32 v13, v23, v5, v22
	v_add_f32_e32 v4, v4, v15
	v_add_f32_e32 v15, v9, v13
	;; [unrolled: 1-line block ×3, first 2 shown]
	v_div_fixup_f32 v10, v20, v17, v25
	v_add_f32_e32 v9, v9, v10
	v_div_fixup_f32 v10, v24, v5, v27
	v_add_f32_e32 v16, v10, v9
	s_waitcnt lgkmcnt(0)
	v_add_f32_e32 v7, v11, v7
	v_div_fixup_f32 v9, v29, v21, v26
	v_add_f32_e32 v7, v7, v9
	v_div_fixup_f32 v9, v28, v17, v18
	;; [unrolled: 2-line block ×3, first 2 shown]
	v_add_f32_e32 v11, v1, v7
	v_mov_b32_e32 v10, v16
	v_mov_b32_e32 v9, v15
	;; [unrolled: 1-line block ×3, first 2 shown]
.LBB13_120:
	s_or_b64 exec, exec, s[10:11]
	s_waitcnt lgkmcnt(5)
	v_or_b32_e32 v18, 8, v8
	s_waitcnt lgkmcnt(1)
	ds_bpermute_b32 v12, v18, v5
	ds_bpermute_b32 v14, v18, v2
	;; [unrolled: 1-line block ×5, first 2 shown]
	s_waitcnt lgkmcnt(5)
	ds_bpermute_b32 v7, v18, v16
	ds_bpermute_b32 v5, v18, v11
	v_add_u32_e32 v6, 2, v6
	v_cmp_gt_u32_e32 vcc, s12, v6
	s_and_saveexec_b64 s[10:11], vcc
	s_cbranch_execz .LBB13_122
; %bb.121:
	s_waitcnt lgkmcnt(3)
	v_sub_f32_e32 v15, v17, v4
	v_add_f32_e32 v6, v1, v12
	v_mul_f32_e32 v16, v15, v12
	v_div_scale_f32 v17, s[0:1], v6, v6, v16
	v_cmp_gt_f32_e64 s[0:1], v2, v14
	v_cndmask_b32_e64 v2, v2, v14, s[0:1]
	v_mul_f32_e32 v14, v15, v15
	v_div_scale_f32 v18, vcc, v16, v6, v16
	v_mul_f32_e32 v20, v1, v14
	v_cmp_lt_f32_e64 s[0:1], v3, v13
	v_mul_f32_e32 v20, v20, v12
	v_cndmask_b32_e64 v3, v3, v13, s[0:1]
	v_div_scale_f32 v22, s[0:1], v6, v6, v20
	v_div_scale_f32 v27, s[0:1], v20, v6, v20
	v_mul_f32_e32 v23, v15, v14
	v_rcp_f32_e32 v21, v17
	v_mul_f32_e32 v24, v15, v23
	v_mul_f32_e32 v23, v1, v23
	;; [unrolled: 1-line block ×3, first 2 shown]
	v_fma_f32 v25, -v17, v21, 1.0
	v_fmac_f32_e32 v21, v25, v21
	v_mul_f32_e32 v25, v18, v21
	v_fma_f32 v26, -v17, v25, v18
	v_fmac_f32_e32 v25, v26, v21
	v_sub_f32_e32 v28, v1, v12
	v_mul_f32_e32 v13, v6, v6
	v_rcp_f32_e32 v26, v22
	v_mul_f32_e32 v23, v28, v23
	v_fma_f32 v17, -v17, v25, v18
	v_div_scale_f32 v28, s[2:3], v13, v13, v23
	v_fma_f32 v18, -v22, v26, 1.0
	v_fmac_f32_e32 v26, v18, v26
	v_div_fmas_f32 v17, v17, v21, v25
	v_mul_f32_e32 v21, v27, v26
	v_fma_f32 v25, -v22, v21, v27
	v_fmac_f32_e32 v21, v25, v26
	v_fma_f32 v22, -v22, v21, v27
	s_mov_b64 vcc, s[0:1]
	v_div_fmas_f32 v21, v22, v26, v21
	v_mul_f32_e32 v26, v9, v12
	v_div_scale_f32 v18, s[2:3], v23, v13, v23
	v_mul_f32_e32 v25, 0x40400000, v15
	s_waitcnt lgkmcnt(2)
	v_fma_f32 v26, v1, v8, -v26
	v_mul_f32_e32 v25, v25, v26
	v_div_scale_f32 v26, s[0:1], v6, v6, v25
	v_div_scale_f32 v29, s[0:1], v25, v6, v25
	v_rcp_f32_e32 v22, v28
	v_mul_f32_e32 v30, v1, v1
	v_mul_f32_e32 v24, v1, v24
	v_fma_f32 v31, -v1, v12, v30
	v_fma_f32 v27, -v28, v22, 1.0
	v_fmac_f32_e32 v22, v27, v22
	v_mul_f32_e32 v24, v24, v12
	v_mul_f32_e32 v27, v18, v22
	v_fma_f32 v32, -v28, v27, v18
	v_fmac_f32_e32 v27, v32, v22
	v_fmac_f32_e32 v31, v12, v12
	v_mul_f32_e32 v19, v6, v13
	v_rcp_f32_e32 v32, v26
	v_mul_f32_e32 v24, v31, v24
	v_fma_f32 v18, -v28, v27, v18
	s_mov_b64 vcc, s[2:3]
	v_div_scale_f32 v31, s[12:13], v19, v19, v24
	v_div_fmas_f32 v18, v18, v22, v27
	v_fma_f32 v22, -v26, v32, 1.0
	v_fmac_f32_e32 v32, v22, v32
	v_mul_f32_e32 v22, v29, v32
	v_fma_f32 v27, -v26, v22, v29
	v_fmac_f32_e32 v22, v27, v32
	v_fma_f32 v26, -v26, v22, v29
	s_mov_b64 vcc, s[0:1]
	v_div_fmas_f32 v22, v26, v32, v22
	v_div_scale_f32 v28, vcc, v24, v19, v24
	v_mul_f32_e32 v26, v12, v12
	v_mul_f32_e32 v29, v30, v8
	;; [unrolled: 1-line block ×3, first 2 shown]
	v_fmac_f32_e32 v29, v9, v26
	v_mul_f32_e32 v14, v14, v29
	v_div_scale_f32 v26, s[0:1], v13, v13, v14
	v_mul_f32_e32 v12, v10, v12
	v_rcp_f32_e32 v27, v31
	v_div_scale_f32 v30, s[0:1], v14, v13, v14
	v_mul_f32_e32 v15, 4.0, v15
	s_waitcnt lgkmcnt(1)
	v_fma_f32 v1, v1, v7, -v12
	v_mul_f32_e32 v1, v15, v1
	v_div_scale_f32 v12, s[2:3], v6, v6, v1
	v_fma_f32 v29, -v31, v27, 1.0
	v_fmac_f32_e32 v27, v29, v27
	v_mul_f32_e32 v15, v28, v27
	v_fma_f32 v29, -v31, v15, v28
	v_fmac_f32_e32 v15, v29, v27
	v_div_scale_f32 v29, s[2:3], v1, v6, v1
	v_rcp_f32_e32 v32, v26
	v_fma_f32 v28, -v31, v15, v28
	v_div_fmas_f32 v15, v28, v27, v15
	s_mov_b64 vcc, s[0:1]
	v_fma_f32 v27, -v26, v32, 1.0
	v_fmac_f32_e32 v32, v27, v32
	v_mul_f32_e32 v27, v30, v32
	v_fma_f32 v28, -v26, v27, v30
	v_fmac_f32_e32 v27, v28, v32
	v_rcp_f32_e32 v28, v12
	v_fma_f32 v26, -v26, v27, v30
	v_div_fmas_f32 v26, v26, v32, v27
	s_mov_b64 vcc, s[2:3]
	v_fma_f32 v27, -v12, v28, 1.0
	v_fmac_f32_e32 v28, v27, v28
	v_mul_f32_e32 v27, v29, v28
	v_fma_f32 v30, -v12, v27, v29
	v_fmac_f32_e32 v27, v30, v28
	v_fma_f32 v12, -v12, v27, v29
	v_div_fmas_f32 v12, v12, v28, v27
	v_add_f32_e32 v8, v9, v8
	v_div_fixup_f32 v9, v21, v6, v20
	v_add_f32_e32 v8, v8, v9
	v_add_f32_e32 v7, v10, v7
	v_div_fixup_f32 v9, v18, v13, v23
	v_add_f32_e32 v7, v7, v9
	v_div_fixup_f32 v9, v22, v6, v25
	v_add_f32_e32 v10, v9, v7
	s_waitcnt lgkmcnt(0)
	v_add_f32_e32 v5, v11, v5
	v_div_fixup_f32 v9, v15, v19, v24
	v_add_f32_e32 v5, v5, v9
	v_div_fixup_f32 v9, v26, v13, v14
	v_div_fixup_f32 v16, v17, v6, v16
	v_add_f32_e32 v5, v9, v5
	v_add_f32_e32 v4, v4, v16
	v_div_fixup_f32 v1, v12, v6, v1
	v_add_f32_e32 v11, v1, v5
	v_mov_b32_e32 v1, v6
	v_mov_b32_e32 v9, v8
.LBB13_122:
	s_or_b64 exec, exec, s[10:11]
.LBB13_123:
	s_or_b64 exec, exec, s[8:9]
.LBB13_124:
	v_cmp_eq_u32_e32 vcc, 0, v0
                                        ; implicit-def: $vgpr14
                                        ; implicit-def: $vgpr8
	s_and_saveexec_b64 s[8:9], vcc
	s_cbranch_execz .LBB13_128
; %bb.125:
	s_cmp_eq_u64 s[26:27], 0
	s_waitcnt lgkmcnt(5)
	v_mov_b32_e32 v14, s22
	s_waitcnt lgkmcnt(4)
	v_mov_b32_e32 v13, s21
	v_mov_b32_e32 v12, s20
	s_waitcnt lgkmcnt(2)
	v_mov_b32_e32 v8, s19
	s_waitcnt lgkmcnt(1)
	v_mov_b32_e32 v7, s18
	v_mov_b32_e32 v6, s17
	s_waitcnt lgkmcnt(0)
	v_mov_b32_e32 v5, s16
	s_cbranch_scc1 .LBB13_127
; %bb.126:
	v_subrev_f32_e32 v0, s19, v4
	v_add_f32_e32 v5, s16, v1
	v_mul_f32_e32 v4, v0, v1
	v_div_scale_f32 v8, s[0:1], v5, v5, v4
	v_mul_f32_e32 v13, v0, v0
	v_div_scale_f32 v12, vcc, v4, v5, v4
	v_mul_f32_e32 v16, s16, v13
	v_mov_b32_e32 v6, s17
	v_cmp_gt_f32_e64 s[0:1], s17, v2
	v_mul_f32_e32 v16, v1, v16
	v_cndmask_b32_e64 v6, v6, v2, s[0:1]
	v_div_scale_f32 v19, s[0:1], v5, v5, v16
	v_mov_b32_e32 v7, s18
	v_cmp_lt_f32_e64 s[0:1], s18, v3
	v_cndmask_b32_e64 v7, v7, v3, s[0:1]
	v_div_scale_f32 v21, s[0:1], v16, v5, v16
	v_rcp_f32_e32 v18, v8
	v_mul_f32_e32 v15, v0, v13
	v_mul_f32_e32 v17, v0, v15
	;; [unrolled: 1-line block ×3, first 2 shown]
	v_fma_f32 v3, -v8, v18, 1.0
	v_fmac_f32_e32 v18, v3, v18
	v_mul_f32_e32 v3, v12, v18
	v_fma_f32 v20, -v8, v3, v12
	v_fmac_f32_e32 v3, v20, v18
	v_rcp_f32_e32 v20, v19
	v_mul_f32_e32 v15, v1, v15
	v_sub_f32_e32 v22, s16, v1
	v_fma_f32 v8, -v8, v3, v12
	v_mul_f32_e32 v14, v5, v5
	v_mul_f32_e32 v15, v22, v15
	v_div_fmas_f32 v3, v8, v18, v3
	v_fma_f32 v8, -v19, v20, 1.0
	v_div_scale_f32 v22, s[2:3], v14, v14, v15
	v_fmac_f32_e32 v20, v8, v20
	v_mul_f32_e32 v12, v21, v20
	v_fma_f32 v18, -v19, v12, v21
	v_fmac_f32_e32 v12, v18, v20
	v_fma_f32 v18, -v19, v12, v21
	s_mov_b64 vcc, s[0:1]
	v_div_fmas_f32 v12, v18, v20, v12
	v_mul_f32_e32 v20, s20, v1
	v_div_scale_f32 v8, s[2:3], v15, v14, v15
	v_mul_f32_e32 v19, 0x40400000, v0
	v_fma_f32 v20, s16, v9, -v20
	v_mul_f32_e32 v19, v19, v20
	v_div_scale_f32 v20, s[0:1], v5, v5, v19
	v_div_scale_f32 v23, s[0:1], v19, v5, v19
	v_rcp_f32_e32 v18, v22
	v_mul_f32_e64 v24, s16, s16
	v_mul_f32_e32 v17, s16, v17
	v_fma_f32 v25, -s16, v1, v24
	v_fma_f32 v21, -v22, v18, 1.0
	v_fmac_f32_e32 v18, v21, v18
	v_mul_f32_e32 v17, v1, v17
	v_mul_f32_e32 v21, v8, v18
	v_fma_f32 v26, -v22, v21, v8
	v_fmac_f32_e32 v21, v26, v18
	v_fmac_f32_e32 v25, v1, v1
	v_mul_f32_e32 v2, v5, v14
	v_rcp_f32_e32 v26, v20
	v_mul_f32_e32 v17, v25, v17
	v_fma_f32 v8, -v22, v21, v8
	s_mov_b64 vcc, s[2:3]
	v_div_scale_f32 v25, s[10:11], v2, v2, v17
	v_div_fmas_f32 v18, v8, v18, v21
	v_fma_f32 v8, -v20, v26, 1.0
	v_fmac_f32_e32 v26, v8, v26
	v_mul_f32_e32 v8, v23, v26
	v_fma_f32 v21, -v20, v8, v23
	v_fmac_f32_e32 v8, v21, v26
	v_fma_f32 v20, -v20, v8, v23
	s_mov_b64 vcc, s[0:1]
	v_div_fmas_f32 v20, v20, v26, v8
	v_mul_f32_e32 v8, v1, v1
	v_div_scale_f32 v22, vcc, v17, v2, v17
	v_mul_f32_e32 v8, s20, v8
	v_mul_f32_e32 v13, 0x40c00000, v13
	v_fmac_f32_e32 v8, v24, v9
	v_mul_f32_e32 v23, v13, v8
	v_div_scale_f32 v8, s[0:1], v14, v14, v23
	v_mul_f32_e32 v1, s21, v1
	v_rcp_f32_e32 v21, v25
	v_div_scale_f32 v24, s[0:1], v23, v14, v23
	v_mul_f32_e32 v0, 4.0, v0
	v_fma_f32 v1, s16, v10, -v1
	v_mul_f32_e32 v0, v0, v1
	v_div_scale_f32 v1, s[2:3], v5, v5, v0
	v_fma_f32 v13, -v25, v21, 1.0
	v_fmac_f32_e32 v21, v13, v21
	v_mul_f32_e32 v13, v22, v21
	v_fma_f32 v26, -v25, v13, v22
	v_fmac_f32_e32 v13, v26, v21
	v_div_scale_f32 v26, s[2:3], v0, v5, v0
	v_rcp_f32_e32 v27, v8
	v_fma_f32 v22, -v25, v13, v22
	v_div_fmas_f32 v21, v22, v21, v13
	s_mov_b64 vcc, s[0:1]
	v_fma_f32 v13, -v8, v27, 1.0
	v_fmac_f32_e32 v27, v13, v27
	v_mul_f32_e32 v13, v24, v27
	v_fma_f32 v22, -v8, v13, v24
	v_fmac_f32_e32 v13, v22, v27
	v_rcp_f32_e32 v22, v1
	v_fma_f32 v8, -v8, v13, v24
	v_div_fmas_f32 v24, v8, v27, v13
	s_mov_b64 vcc, s[2:3]
	v_fma_f32 v8, -v1, v22, 1.0
	v_fmac_f32_e32 v22, v8, v22
	v_mul_f32_e32 v8, v26, v22
	v_fma_f32 v13, -v1, v8, v26
	v_fmac_f32_e32 v8, v13, v22
	v_fma_f32 v1, -v1, v8, v26
	v_div_fmas_f32 v1, v1, v22, v8
	v_div_fixup_f32 v3, v3, v5, v4
	v_add_f32_e32 v8, s19, v3
	v_add_f32_e32 v3, s20, v9
	v_div_fixup_f32 v4, v12, v5, v16
	v_add_f32_e32 v12, v3, v4
	v_add_f32_e32 v3, s21, v10
	v_div_fixup_f32 v4, v18, v14, v15
	v_add_f32_e32 v3, v3, v4
	v_div_fixup_f32 v4, v20, v5, v19
	v_add_f32_e32 v13, v4, v3
	v_add_f32_e32 v3, s22, v11
	v_div_fixup_f32 v2, v21, v2, v17
	v_add_f32_e32 v2, v3, v2
	v_div_fixup_f32 v3, v24, v14, v23
	;; [unrolled: 2-line block ×3, first 2 shown]
	v_add_f32_e32 v14, v0, v2
.LBB13_127:
	s_or_b64 s[28:29], s[28:29], exec
.LBB13_128:
	s_or_b64 exec, exec, s[8:9]
	s_and_saveexec_b64 s[0:1], s[28:29]
	s_cbranch_execz .LBB13_99
.LBB13_129:
	s_load_dwordx2 s[0:1], s[4:5], 0x18
	s_mul_i32 s2, s7, 28
	s_mul_hi_u32 s3, s6, 28
	s_mul_i32 s4, s6, 28
	s_add_i32 s3, s3, s2
	s_waitcnt lgkmcnt(0)
	s_add_u32 s0, s0, s4
	s_addc_u32 s1, s1, s3
	v_mov_b32_e32 v0, 0
	global_store_dwordx4 v0, v[5:8], s[0:1]
	global_store_dwordx3 v0, v[12:14], s[0:1] offset:16
	s_endpgm
.LBB13_130:
	v_mad_u64_u32 v[29:30], s[10:11], v5, 28, s[10:11]
	global_load_dwordx4 v[5:8], v[29:30], off
	global_load_dwordx3 v[20:22], v[29:30], off offset:16
	s_or_b64 exec, exec, s[8:9]
	s_and_saveexec_b64 s[14:15], vcc
	s_cbranch_execz .LBB13_29
.LBB13_131:
	s_waitcnt vmcnt(1)
	v_sub_f32_e32 v16, v16, v4
	v_add_f32_e32 v29, v1, v13
	v_mul_f32_e32 v30, v16, v13
	v_div_scale_f32 v31, s[8:9], v29, v29, v30
	v_cmp_lt_f32_e64 s[8:9], v14, v2
	v_cndmask_b32_e64 v2, v2, v14, s[8:9]
	v_cmp_lt_f32_e64 s[8:9], v3, v15
	v_cndmask_b32_e64 v3, v3, v15, s[8:9]
	v_mul_f32_e32 v15, v16, v16
	v_div_scale_f32 v32, vcc, v30, v29, v30
	v_mul_f32_e32 v34, v1, v15
	v_mul_f32_e32 v34, v13, v34
	v_div_scale_f32 v36, s[8:9], v29, v29, v34
	v_div_scale_f32 v41, s[8:9], v34, v29, v34
	v_mul_f32_e32 v37, v16, v15
	v_rcp_f32_e32 v35, v31
	v_mul_f32_e32 v38, v16, v37
	v_mul_f32_e32 v37, v1, v37
	;; [unrolled: 1-line block ×3, first 2 shown]
	v_fma_f32 v39, -v31, v35, 1.0
	v_fmac_f32_e32 v35, v39, v35
	v_sub_f32_e32 v42, v1, v13
	v_mul_f32_e32 v39, v32, v35
	v_fma_f32 v40, -v31, v39, v32
	v_fmac_f32_e32 v39, v40, v35
	v_mul_f32_e32 v14, v29, v29
	v_rcp_f32_e32 v40, v36
	v_mul_f32_e32 v37, v42, v37
	v_fma_f32 v31, -v31, v39, v32
	v_div_scale_f32 v42, s[10:11], v14, v14, v37
	v_fma_f32 v32, -v36, v40, 1.0
	v_fmac_f32_e32 v40, v32, v40
	v_div_fmas_f32 v31, v31, v35, v39
	v_mul_f32_e32 v35, v41, v40
	v_fma_f32 v39, -v36, v35, v41
	v_fmac_f32_e32 v35, v39, v40
	v_fma_f32 v36, -v36, v35, v41
	s_mov_b64 vcc, s[8:9]
	v_div_fmas_f32 v35, v36, v40, v35
	s_waitcnt vmcnt(0)
	v_mul_f32_e32 v40, v17, v13
	v_div_scale_f32 v32, s[10:11], v37, v14, v37
	v_mul_f32_e32 v39, 0x40400000, v16
	v_fma_f32 v40, v1, v26, -v40
	v_mul_f32_e32 v39, v39, v40
	v_div_scale_f32 v40, s[8:9], v29, v29, v39
	v_div_scale_f32 v43, s[8:9], v39, v29, v39
	v_rcp_f32_e32 v36, v42
	v_mul_f32_e32 v44, v1, v1
	v_mul_f32_e32 v38, v1, v38
	v_fma_f32 v45, -v1, v13, v44
	v_fma_f32 v41, -v42, v36, 1.0
	v_fmac_f32_e32 v36, v41, v36
	v_mul_f32_e32 v38, v13, v38
	v_mul_f32_e32 v41, v32, v36
	v_fma_f32 v46, -v42, v41, v32
	v_fmac_f32_e32 v41, v46, v36
	v_fmac_f32_e32 v45, v13, v13
	v_mul_f32_e32 v33, v29, v14
	v_rcp_f32_e32 v46, v40
	v_mul_f32_e32 v38, v45, v38
	v_fma_f32 v32, -v42, v41, v32
	s_mov_b64 vcc, s[10:11]
	v_div_scale_f32 v45, s[28:29], v33, v33, v38
	v_div_fmas_f32 v32, v32, v36, v41
	v_fma_f32 v36, -v40, v46, 1.0
	v_fmac_f32_e32 v46, v36, v46
	v_mul_f32_e32 v36, v43, v46
	v_fma_f32 v41, -v40, v36, v43
	v_fmac_f32_e32 v36, v41, v46
	v_fma_f32 v40, -v40, v36, v43
	s_mov_b64 vcc, s[8:9]
	v_div_fmas_f32 v36, v40, v46, v36
	v_mul_f32_e32 v40, v13, v13
	v_div_scale_f32 v42, vcc, v38, v33, v38
	v_mul_f32_e32 v40, v17, v40
	v_mul_f32_e32 v15, 0x40c00000, v15
	v_fmac_f32_e32 v40, v44, v26
	v_mul_f32_e32 v15, v15, v40
	v_div_scale_f32 v40, s[8:9], v14, v14, v15
	v_mul_f32_e32 v13, v18, v13
	v_rcp_f32_e32 v41, v45
	v_div_scale_f32 v44, s[8:9], v15, v14, v15
	v_mul_f32_e32 v16, 4.0, v16
	v_fma_f32 v1, v1, v27, -v13
	v_mul_f32_e32 v1, v16, v1
	v_div_scale_f32 v13, s[10:11], v29, v29, v1
	v_fma_f32 v43, -v45, v41, 1.0
	v_fmac_f32_e32 v41, v43, v41
	v_mul_f32_e32 v16, v42, v41
	v_fma_f32 v43, -v45, v16, v42
	v_fmac_f32_e32 v16, v43, v41
	v_div_scale_f32 v43, s[10:11], v1, v29, v1
	v_rcp_f32_e32 v46, v40
	v_fma_f32 v42, -v45, v16, v42
	v_div_fmas_f32 v16, v42, v41, v16
	s_mov_b64 vcc, s[8:9]
	v_fma_f32 v41, -v40, v46, 1.0
	v_fmac_f32_e32 v46, v41, v46
	v_mul_f32_e32 v41, v44, v46
	v_fma_f32 v42, -v40, v41, v44
	v_fmac_f32_e32 v41, v42, v46
	v_rcp_f32_e32 v42, v13
	v_fma_f32 v40, -v40, v41, v44
	v_div_fmas_f32 v40, v40, v46, v41
	s_mov_b64 vcc, s[10:11]
	v_fma_f32 v41, -v13, v42, 1.0
	v_fmac_f32_e32 v42, v41, v42
	v_mul_f32_e32 v41, v43, v42
	v_fma_f32 v44, -v13, v41, v43
	v_fmac_f32_e32 v41, v44, v42
	v_fma_f32 v13, -v13, v41, v43
	v_div_fmas_f32 v13, v13, v42, v41
	v_add_f32_e32 v17, v17, v26
	v_div_fixup_f32 v26, v35, v29, v34
	v_add_f32_e32 v19, v19, v28
	v_div_fixup_f32 v16, v16, v33, v38
	v_add_f32_e32 v17, v17, v26
	v_add_f32_e32 v18, v18, v27
	v_div_fixup_f32 v26, v32, v14, v37
	v_add_f32_e32 v16, v19, v16
	v_div_fixup_f32 v14, v40, v14, v15
	v_div_fixup_f32 v30, v31, v29, v30
	v_add_f32_e32 v18, v18, v26
	v_div_fixup_f32 v26, v36, v29, v39
	v_add_f32_e32 v14, v14, v16
	v_add_f32_e32 v4, v4, v30
	;; [unrolled: 1-line block ×3, first 2 shown]
	v_div_fixup_f32 v1, v13, v29, v1
	v_add_f32_e32 v19, v1, v14
	v_mov_b32_e32 v1, v29
	s_or_b64 exec, exec, s[14:15]
	s_and_saveexec_b64 s[10:11], s[2:3]
	s_cbranch_execz .LBB13_30
.LBB13_132:
	s_waitcnt vmcnt(1)
	v_sub_f32_e32 v12, v12, v4
	v_add_f32_e32 v13, v9, v1
	v_mul_f32_e32 v14, v9, v12
	v_div_scale_f32 v15, s[2:3], v13, v13, v14
	v_cmp_lt_f32_e64 s[2:3], v10, v2
	v_cndmask_b32_e64 v2, v2, v10, s[2:3]
	v_cmp_lt_f32_e64 s[2:3], v3, v11
	v_cndmask_b32_e64 v3, v3, v11, s[2:3]
	v_mul_f32_e32 v11, v12, v12
	v_div_scale_f32 v16, vcc, v14, v13, v14
	s_waitcnt vmcnt(0)
	v_mul_f32_e32 v27, v11, v1
	v_mul_f32_e32 v27, v9, v27
	v_div_scale_f32 v29, s[2:3], v13, v13, v27
	v_div_scale_f32 v34, s[2:3], v27, v13, v27
	v_mul_f32_e32 v30, v12, v11
	v_rcp_f32_e32 v28, v15
	v_mul_f32_e32 v31, v12, v30
	v_mul_f32_e32 v30, v1, v30
	;; [unrolled: 1-line block ×3, first 2 shown]
	v_fma_f32 v32, -v15, v28, 1.0
	v_fmac_f32_e32 v28, v32, v28
	v_sub_f32_e32 v35, v1, v9
	v_mul_f32_e32 v32, v16, v28
	v_fma_f32 v33, -v15, v32, v16
	v_fmac_f32_e32 v32, v33, v28
	v_mul_f32_e32 v10, v13, v13
	v_rcp_f32_e32 v33, v29
	v_mul_f32_e32 v30, v35, v30
	v_fma_f32 v15, -v15, v32, v16
	v_div_scale_f32 v35, s[8:9], v10, v10, v30
	v_fma_f32 v16, -v29, v33, 1.0
	v_fmac_f32_e32 v33, v16, v33
	v_div_fmas_f32 v15, v15, v28, v32
	v_mul_f32_e32 v28, v34, v33
	v_fma_f32 v32, -v29, v28, v34
	v_fmac_f32_e32 v28, v32, v33
	v_fma_f32 v29, -v29, v28, v34
	s_mov_b64 vcc, s[2:3]
	v_div_fmas_f32 v28, v29, v33, v28
	v_mul_f32_e32 v33, v9, v17
	v_div_scale_f32 v16, s[8:9], v30, v10, v30
	v_mul_f32_e32 v32, 0x40400000, v12
	v_fma_f32 v33, v23, v1, -v33
	v_mul_f32_e32 v32, v32, v33
	v_div_scale_f32 v33, s[2:3], v13, v13, v32
	v_div_scale_f32 v36, s[2:3], v32, v13, v32
	v_rcp_f32_e32 v29, v35
	v_mul_f32_e32 v37, v1, v1
	v_mul_f32_e32 v31, v1, v31
	v_fma_f32 v38, -v9, v1, v37
	v_fma_f32 v34, -v35, v29, 1.0
	v_fmac_f32_e32 v29, v34, v29
	v_mul_f32_e32 v31, v9, v31
	v_mul_f32_e32 v34, v16, v29
	v_fma_f32 v39, -v35, v34, v16
	v_fmac_f32_e32 v34, v39, v29
	v_fmac_f32_e32 v38, v9, v9
	v_mul_f32_e32 v26, v13, v10
	v_rcp_f32_e32 v39, v33
	v_mul_f32_e32 v31, v38, v31
	v_fma_f32 v16, -v35, v34, v16
	s_mov_b64 vcc, s[8:9]
	v_div_scale_f32 v38, s[14:15], v26, v26, v31
	v_div_fmas_f32 v16, v16, v29, v34
	v_fma_f32 v29, -v33, v39, 1.0
	v_fmac_f32_e32 v39, v29, v39
	v_mul_f32_e32 v29, v36, v39
	v_fma_f32 v34, -v33, v29, v36
	v_fmac_f32_e32 v29, v34, v39
	v_fma_f32 v33, -v33, v29, v36
	s_mov_b64 vcc, s[2:3]
	v_div_fmas_f32 v29, v33, v39, v29
	v_div_scale_f32 v35, vcc, v31, v26, v31
	v_mul_f32_e32 v33, v9, v9
	v_mul_f32_e32 v36, v23, v37
	;; [unrolled: 1-line block ×3, first 2 shown]
	v_fmac_f32_e32 v36, v33, v17
	v_mul_f32_e32 v11, v11, v36
	v_div_scale_f32 v33, s[2:3], v10, v10, v11
	v_mul_f32_e32 v9, v9, v18
	v_rcp_f32_e32 v34, v38
	v_div_scale_f32 v37, s[2:3], v11, v10, v11
	v_mul_f32_e32 v12, 4.0, v12
	v_fma_f32 v1, v24, v1, -v9
	v_mul_f32_e32 v1, v12, v1
	v_div_scale_f32 v9, s[8:9], v13, v13, v1
	v_fma_f32 v36, -v38, v34, 1.0
	v_fmac_f32_e32 v34, v36, v34
	v_mul_f32_e32 v12, v35, v34
	v_fma_f32 v36, -v38, v12, v35
	v_fmac_f32_e32 v12, v36, v34
	v_div_scale_f32 v36, s[8:9], v1, v13, v1
	v_rcp_f32_e32 v39, v33
	v_fma_f32 v35, -v38, v12, v35
	v_div_fmas_f32 v12, v35, v34, v12
	s_mov_b64 vcc, s[2:3]
	v_fma_f32 v34, -v33, v39, 1.0
	v_fmac_f32_e32 v39, v34, v39
	v_mul_f32_e32 v34, v37, v39
	v_fma_f32 v35, -v33, v34, v37
	v_fmac_f32_e32 v34, v35, v39
	v_rcp_f32_e32 v35, v9
	v_fma_f32 v33, -v33, v34, v37
	v_div_fmas_f32 v33, v33, v39, v34
	s_mov_b64 vcc, s[8:9]
	v_fma_f32 v34, -v9, v35, 1.0
	v_fmac_f32_e32 v35, v34, v35
	v_mul_f32_e32 v34, v36, v35
	v_fma_f32 v37, -v9, v34, v36
	v_fmac_f32_e32 v34, v37, v35
	v_fma_f32 v9, -v9, v34, v36
	v_div_fmas_f32 v9, v9, v35, v34
	v_div_fixup_f32 v14, v15, v13, v14
	v_add_f32_e32 v4, v4, v14
	v_add_f32_e32 v14, v23, v17
	v_div_fixup_f32 v15, v28, v13, v27
	v_add_f32_e32 v17, v14, v15
	v_add_f32_e32 v15, v24, v18
	v_div_fixup_f32 v16, v16, v10, v30
	v_add_f32_e32 v15, v15, v16
	v_div_fixup_f32 v16, v29, v13, v32
	v_add_f32_e32 v18, v16, v15
	v_add_f32_e32 v16, v25, v19
	v_div_fixup_f32 v12, v12, v26, v31
	v_add_f32_e32 v12, v16, v12
	v_div_fixup_f32 v10, v33, v10, v11
	;; [unrolled: 2-line block ×3, first 2 shown]
	v_add_f32_e32 v19, v1, v10
	v_mov_b32_e32 v1, v13
	s_or_b64 exec, exec, s[10:11]
	s_and_saveexec_b64 s[8:9], s[0:1]
	s_cbranch_execnz .LBB13_31
	s_branch .LBB13_32
	.section	.rodata,"a",@progbits
	.p2align	6, 0x0
	.amdhsa_kernel _ZN7rocprim17ROCPRIM_400000_NS6detail17trampoline_kernelINS0_14default_configENS1_22reduce_config_selectorI18summary_stats_dataIfEEEZNS1_11reduce_implILb1ES3_PS6_S9_S6_23summary_stats_binary_opIfEEE10hipError_tPvRmT1_T2_T3_mT4_P12ihipStream_tbEUlT_E1_NS1_11comp_targetILNS1_3genE2ELNS1_11target_archE906ELNS1_3gpuE6ELNS1_3repE0EEENS1_30default_config_static_selectorELNS0_4arch9wavefront6targetE1EEEvSF_
		.amdhsa_group_segment_fixed_size 448
		.amdhsa_private_segment_fixed_size 0
		.amdhsa_kernarg_size 64
		.amdhsa_user_sgpr_count 6
		.amdhsa_user_sgpr_private_segment_buffer 1
		.amdhsa_user_sgpr_dispatch_ptr 0
		.amdhsa_user_sgpr_queue_ptr 0
		.amdhsa_user_sgpr_kernarg_segment_ptr 1
		.amdhsa_user_sgpr_dispatch_id 0
		.amdhsa_user_sgpr_flat_scratch_init 0
		.amdhsa_user_sgpr_private_segment_size 0
		.amdhsa_uses_dynamic_stack 0
		.amdhsa_system_sgpr_private_segment_wavefront_offset 0
		.amdhsa_system_sgpr_workgroup_id_x 1
		.amdhsa_system_sgpr_workgroup_id_y 0
		.amdhsa_system_sgpr_workgroup_id_z 0
		.amdhsa_system_sgpr_workgroup_info 0
		.amdhsa_system_vgpr_workitem_id 0
		.amdhsa_next_free_vgpr 47
		.amdhsa_next_free_sgpr 34
		.amdhsa_reserve_vcc 1
		.amdhsa_reserve_flat_scratch 0
		.amdhsa_float_round_mode_32 0
		.amdhsa_float_round_mode_16_64 0
		.amdhsa_float_denorm_mode_32 3
		.amdhsa_float_denorm_mode_16_64 3
		.amdhsa_dx10_clamp 1
		.amdhsa_ieee_mode 1
		.amdhsa_fp16_overflow 0
		.amdhsa_exception_fp_ieee_invalid_op 0
		.amdhsa_exception_fp_denorm_src 0
		.amdhsa_exception_fp_ieee_div_zero 0
		.amdhsa_exception_fp_ieee_overflow 0
		.amdhsa_exception_fp_ieee_underflow 0
		.amdhsa_exception_fp_ieee_inexact 0
		.amdhsa_exception_int_div_zero 0
	.end_amdhsa_kernel
	.section	.text._ZN7rocprim17ROCPRIM_400000_NS6detail17trampoline_kernelINS0_14default_configENS1_22reduce_config_selectorI18summary_stats_dataIfEEEZNS1_11reduce_implILb1ES3_PS6_S9_S6_23summary_stats_binary_opIfEEE10hipError_tPvRmT1_T2_T3_mT4_P12ihipStream_tbEUlT_E1_NS1_11comp_targetILNS1_3genE2ELNS1_11target_archE906ELNS1_3gpuE6ELNS1_3repE0EEENS1_30default_config_static_selectorELNS0_4arch9wavefront6targetE1EEEvSF_,"axG",@progbits,_ZN7rocprim17ROCPRIM_400000_NS6detail17trampoline_kernelINS0_14default_configENS1_22reduce_config_selectorI18summary_stats_dataIfEEEZNS1_11reduce_implILb1ES3_PS6_S9_S6_23summary_stats_binary_opIfEEE10hipError_tPvRmT1_T2_T3_mT4_P12ihipStream_tbEUlT_E1_NS1_11comp_targetILNS1_3genE2ELNS1_11target_archE906ELNS1_3gpuE6ELNS1_3repE0EEENS1_30default_config_static_selectorELNS0_4arch9wavefront6targetE1EEEvSF_,comdat
.Lfunc_end13:
	.size	_ZN7rocprim17ROCPRIM_400000_NS6detail17trampoline_kernelINS0_14default_configENS1_22reduce_config_selectorI18summary_stats_dataIfEEEZNS1_11reduce_implILb1ES3_PS6_S9_S6_23summary_stats_binary_opIfEEE10hipError_tPvRmT1_T2_T3_mT4_P12ihipStream_tbEUlT_E1_NS1_11comp_targetILNS1_3genE2ELNS1_11target_archE906ELNS1_3gpuE6ELNS1_3repE0EEENS1_30default_config_static_selectorELNS0_4arch9wavefront6targetE1EEEvSF_, .Lfunc_end13-_ZN7rocprim17ROCPRIM_400000_NS6detail17trampoline_kernelINS0_14default_configENS1_22reduce_config_selectorI18summary_stats_dataIfEEEZNS1_11reduce_implILb1ES3_PS6_S9_S6_23summary_stats_binary_opIfEEE10hipError_tPvRmT1_T2_T3_mT4_P12ihipStream_tbEUlT_E1_NS1_11comp_targetILNS1_3genE2ELNS1_11target_archE906ELNS1_3gpuE6ELNS1_3repE0EEENS1_30default_config_static_selectorELNS0_4arch9wavefront6targetE1EEEvSF_
                                        ; -- End function
	.set _ZN7rocprim17ROCPRIM_400000_NS6detail17trampoline_kernelINS0_14default_configENS1_22reduce_config_selectorI18summary_stats_dataIfEEEZNS1_11reduce_implILb1ES3_PS6_S9_S6_23summary_stats_binary_opIfEEE10hipError_tPvRmT1_T2_T3_mT4_P12ihipStream_tbEUlT_E1_NS1_11comp_targetILNS1_3genE2ELNS1_11target_archE906ELNS1_3gpuE6ELNS1_3repE0EEENS1_30default_config_static_selectorELNS0_4arch9wavefront6targetE1EEEvSF_.num_vgpr, 47
	.set _ZN7rocprim17ROCPRIM_400000_NS6detail17trampoline_kernelINS0_14default_configENS1_22reduce_config_selectorI18summary_stats_dataIfEEEZNS1_11reduce_implILb1ES3_PS6_S9_S6_23summary_stats_binary_opIfEEE10hipError_tPvRmT1_T2_T3_mT4_P12ihipStream_tbEUlT_E1_NS1_11comp_targetILNS1_3genE2ELNS1_11target_archE906ELNS1_3gpuE6ELNS1_3repE0EEENS1_30default_config_static_selectorELNS0_4arch9wavefront6targetE1EEEvSF_.num_agpr, 0
	.set _ZN7rocprim17ROCPRIM_400000_NS6detail17trampoline_kernelINS0_14default_configENS1_22reduce_config_selectorI18summary_stats_dataIfEEEZNS1_11reduce_implILb1ES3_PS6_S9_S6_23summary_stats_binary_opIfEEE10hipError_tPvRmT1_T2_T3_mT4_P12ihipStream_tbEUlT_E1_NS1_11comp_targetILNS1_3genE2ELNS1_11target_archE906ELNS1_3gpuE6ELNS1_3repE0EEENS1_30default_config_static_selectorELNS0_4arch9wavefront6targetE1EEEvSF_.numbered_sgpr, 34
	.set _ZN7rocprim17ROCPRIM_400000_NS6detail17trampoline_kernelINS0_14default_configENS1_22reduce_config_selectorI18summary_stats_dataIfEEEZNS1_11reduce_implILb1ES3_PS6_S9_S6_23summary_stats_binary_opIfEEE10hipError_tPvRmT1_T2_T3_mT4_P12ihipStream_tbEUlT_E1_NS1_11comp_targetILNS1_3genE2ELNS1_11target_archE906ELNS1_3gpuE6ELNS1_3repE0EEENS1_30default_config_static_selectorELNS0_4arch9wavefront6targetE1EEEvSF_.num_named_barrier, 0
	.set _ZN7rocprim17ROCPRIM_400000_NS6detail17trampoline_kernelINS0_14default_configENS1_22reduce_config_selectorI18summary_stats_dataIfEEEZNS1_11reduce_implILb1ES3_PS6_S9_S6_23summary_stats_binary_opIfEEE10hipError_tPvRmT1_T2_T3_mT4_P12ihipStream_tbEUlT_E1_NS1_11comp_targetILNS1_3genE2ELNS1_11target_archE906ELNS1_3gpuE6ELNS1_3repE0EEENS1_30default_config_static_selectorELNS0_4arch9wavefront6targetE1EEEvSF_.private_seg_size, 0
	.set _ZN7rocprim17ROCPRIM_400000_NS6detail17trampoline_kernelINS0_14default_configENS1_22reduce_config_selectorI18summary_stats_dataIfEEEZNS1_11reduce_implILb1ES3_PS6_S9_S6_23summary_stats_binary_opIfEEE10hipError_tPvRmT1_T2_T3_mT4_P12ihipStream_tbEUlT_E1_NS1_11comp_targetILNS1_3genE2ELNS1_11target_archE906ELNS1_3gpuE6ELNS1_3repE0EEENS1_30default_config_static_selectorELNS0_4arch9wavefront6targetE1EEEvSF_.uses_vcc, 1
	.set _ZN7rocprim17ROCPRIM_400000_NS6detail17trampoline_kernelINS0_14default_configENS1_22reduce_config_selectorI18summary_stats_dataIfEEEZNS1_11reduce_implILb1ES3_PS6_S9_S6_23summary_stats_binary_opIfEEE10hipError_tPvRmT1_T2_T3_mT4_P12ihipStream_tbEUlT_E1_NS1_11comp_targetILNS1_3genE2ELNS1_11target_archE906ELNS1_3gpuE6ELNS1_3repE0EEENS1_30default_config_static_selectorELNS0_4arch9wavefront6targetE1EEEvSF_.uses_flat_scratch, 0
	.set _ZN7rocprim17ROCPRIM_400000_NS6detail17trampoline_kernelINS0_14default_configENS1_22reduce_config_selectorI18summary_stats_dataIfEEEZNS1_11reduce_implILb1ES3_PS6_S9_S6_23summary_stats_binary_opIfEEE10hipError_tPvRmT1_T2_T3_mT4_P12ihipStream_tbEUlT_E1_NS1_11comp_targetILNS1_3genE2ELNS1_11target_archE906ELNS1_3gpuE6ELNS1_3repE0EEENS1_30default_config_static_selectorELNS0_4arch9wavefront6targetE1EEEvSF_.has_dyn_sized_stack, 0
	.set _ZN7rocprim17ROCPRIM_400000_NS6detail17trampoline_kernelINS0_14default_configENS1_22reduce_config_selectorI18summary_stats_dataIfEEEZNS1_11reduce_implILb1ES3_PS6_S9_S6_23summary_stats_binary_opIfEEE10hipError_tPvRmT1_T2_T3_mT4_P12ihipStream_tbEUlT_E1_NS1_11comp_targetILNS1_3genE2ELNS1_11target_archE906ELNS1_3gpuE6ELNS1_3repE0EEENS1_30default_config_static_selectorELNS0_4arch9wavefront6targetE1EEEvSF_.has_recursion, 0
	.set _ZN7rocprim17ROCPRIM_400000_NS6detail17trampoline_kernelINS0_14default_configENS1_22reduce_config_selectorI18summary_stats_dataIfEEEZNS1_11reduce_implILb1ES3_PS6_S9_S6_23summary_stats_binary_opIfEEE10hipError_tPvRmT1_T2_T3_mT4_P12ihipStream_tbEUlT_E1_NS1_11comp_targetILNS1_3genE2ELNS1_11target_archE906ELNS1_3gpuE6ELNS1_3repE0EEENS1_30default_config_static_selectorELNS0_4arch9wavefront6targetE1EEEvSF_.has_indirect_call, 0
	.section	.AMDGPU.csdata,"",@progbits
; Kernel info:
; codeLenInByte = 50648
; TotalNumSgprs: 38
; NumVgprs: 47
; ScratchSize: 0
; MemoryBound: 1
; FloatMode: 240
; IeeeMode: 1
; LDSByteSize: 448 bytes/workgroup (compile time only)
; SGPRBlocks: 4
; VGPRBlocks: 11
; NumSGPRsForWavesPerEU: 38
; NumVGPRsForWavesPerEU: 47
; Occupancy: 5
; WaveLimiterHint : 1
; COMPUTE_PGM_RSRC2:SCRATCH_EN: 0
; COMPUTE_PGM_RSRC2:USER_SGPR: 6
; COMPUTE_PGM_RSRC2:TRAP_HANDLER: 0
; COMPUTE_PGM_RSRC2:TGID_X_EN: 1
; COMPUTE_PGM_RSRC2:TGID_Y_EN: 0
; COMPUTE_PGM_RSRC2:TGID_Z_EN: 0
; COMPUTE_PGM_RSRC2:TIDIG_COMP_CNT: 0
	.section	.text._ZN7rocprim17ROCPRIM_400000_NS6detail17trampoline_kernelINS0_14default_configENS1_22reduce_config_selectorI18summary_stats_dataIfEEEZNS1_11reduce_implILb1ES3_PS6_S9_S6_23summary_stats_binary_opIfEEE10hipError_tPvRmT1_T2_T3_mT4_P12ihipStream_tbEUlT_E1_NS1_11comp_targetILNS1_3genE10ELNS1_11target_archE1201ELNS1_3gpuE5ELNS1_3repE0EEENS1_30default_config_static_selectorELNS0_4arch9wavefront6targetE1EEEvSF_,"axG",@progbits,_ZN7rocprim17ROCPRIM_400000_NS6detail17trampoline_kernelINS0_14default_configENS1_22reduce_config_selectorI18summary_stats_dataIfEEEZNS1_11reduce_implILb1ES3_PS6_S9_S6_23summary_stats_binary_opIfEEE10hipError_tPvRmT1_T2_T3_mT4_P12ihipStream_tbEUlT_E1_NS1_11comp_targetILNS1_3genE10ELNS1_11target_archE1201ELNS1_3gpuE5ELNS1_3repE0EEENS1_30default_config_static_selectorELNS0_4arch9wavefront6targetE1EEEvSF_,comdat
	.protected	_ZN7rocprim17ROCPRIM_400000_NS6detail17trampoline_kernelINS0_14default_configENS1_22reduce_config_selectorI18summary_stats_dataIfEEEZNS1_11reduce_implILb1ES3_PS6_S9_S6_23summary_stats_binary_opIfEEE10hipError_tPvRmT1_T2_T3_mT4_P12ihipStream_tbEUlT_E1_NS1_11comp_targetILNS1_3genE10ELNS1_11target_archE1201ELNS1_3gpuE5ELNS1_3repE0EEENS1_30default_config_static_selectorELNS0_4arch9wavefront6targetE1EEEvSF_ ; -- Begin function _ZN7rocprim17ROCPRIM_400000_NS6detail17trampoline_kernelINS0_14default_configENS1_22reduce_config_selectorI18summary_stats_dataIfEEEZNS1_11reduce_implILb1ES3_PS6_S9_S6_23summary_stats_binary_opIfEEE10hipError_tPvRmT1_T2_T3_mT4_P12ihipStream_tbEUlT_E1_NS1_11comp_targetILNS1_3genE10ELNS1_11target_archE1201ELNS1_3gpuE5ELNS1_3repE0EEENS1_30default_config_static_selectorELNS0_4arch9wavefront6targetE1EEEvSF_
	.globl	_ZN7rocprim17ROCPRIM_400000_NS6detail17trampoline_kernelINS0_14default_configENS1_22reduce_config_selectorI18summary_stats_dataIfEEEZNS1_11reduce_implILb1ES3_PS6_S9_S6_23summary_stats_binary_opIfEEE10hipError_tPvRmT1_T2_T3_mT4_P12ihipStream_tbEUlT_E1_NS1_11comp_targetILNS1_3genE10ELNS1_11target_archE1201ELNS1_3gpuE5ELNS1_3repE0EEENS1_30default_config_static_selectorELNS0_4arch9wavefront6targetE1EEEvSF_
	.p2align	8
	.type	_ZN7rocprim17ROCPRIM_400000_NS6detail17trampoline_kernelINS0_14default_configENS1_22reduce_config_selectorI18summary_stats_dataIfEEEZNS1_11reduce_implILb1ES3_PS6_S9_S6_23summary_stats_binary_opIfEEE10hipError_tPvRmT1_T2_T3_mT4_P12ihipStream_tbEUlT_E1_NS1_11comp_targetILNS1_3genE10ELNS1_11target_archE1201ELNS1_3gpuE5ELNS1_3repE0EEENS1_30default_config_static_selectorELNS0_4arch9wavefront6targetE1EEEvSF_,@function
_ZN7rocprim17ROCPRIM_400000_NS6detail17trampoline_kernelINS0_14default_configENS1_22reduce_config_selectorI18summary_stats_dataIfEEEZNS1_11reduce_implILb1ES3_PS6_S9_S6_23summary_stats_binary_opIfEEE10hipError_tPvRmT1_T2_T3_mT4_P12ihipStream_tbEUlT_E1_NS1_11comp_targetILNS1_3genE10ELNS1_11target_archE1201ELNS1_3gpuE5ELNS1_3repE0EEENS1_30default_config_static_selectorELNS0_4arch9wavefront6targetE1EEEvSF_: ; @_ZN7rocprim17ROCPRIM_400000_NS6detail17trampoline_kernelINS0_14default_configENS1_22reduce_config_selectorI18summary_stats_dataIfEEEZNS1_11reduce_implILb1ES3_PS6_S9_S6_23summary_stats_binary_opIfEEE10hipError_tPvRmT1_T2_T3_mT4_P12ihipStream_tbEUlT_E1_NS1_11comp_targetILNS1_3genE10ELNS1_11target_archE1201ELNS1_3gpuE5ELNS1_3repE0EEENS1_30default_config_static_selectorELNS0_4arch9wavefront6targetE1EEEvSF_
; %bb.0:
	.section	.rodata,"a",@progbits
	.p2align	6, 0x0
	.amdhsa_kernel _ZN7rocprim17ROCPRIM_400000_NS6detail17trampoline_kernelINS0_14default_configENS1_22reduce_config_selectorI18summary_stats_dataIfEEEZNS1_11reduce_implILb1ES3_PS6_S9_S6_23summary_stats_binary_opIfEEE10hipError_tPvRmT1_T2_T3_mT4_P12ihipStream_tbEUlT_E1_NS1_11comp_targetILNS1_3genE10ELNS1_11target_archE1201ELNS1_3gpuE5ELNS1_3repE0EEENS1_30default_config_static_selectorELNS0_4arch9wavefront6targetE1EEEvSF_
		.amdhsa_group_segment_fixed_size 0
		.amdhsa_private_segment_fixed_size 0
		.amdhsa_kernarg_size 64
		.amdhsa_user_sgpr_count 6
		.amdhsa_user_sgpr_private_segment_buffer 1
		.amdhsa_user_sgpr_dispatch_ptr 0
		.amdhsa_user_sgpr_queue_ptr 0
		.amdhsa_user_sgpr_kernarg_segment_ptr 1
		.amdhsa_user_sgpr_dispatch_id 0
		.amdhsa_user_sgpr_flat_scratch_init 0
		.amdhsa_user_sgpr_private_segment_size 0
		.amdhsa_uses_dynamic_stack 0
		.amdhsa_system_sgpr_private_segment_wavefront_offset 0
		.amdhsa_system_sgpr_workgroup_id_x 1
		.amdhsa_system_sgpr_workgroup_id_y 0
		.amdhsa_system_sgpr_workgroup_id_z 0
		.amdhsa_system_sgpr_workgroup_info 0
		.amdhsa_system_vgpr_workitem_id 0
		.amdhsa_next_free_vgpr 1
		.amdhsa_next_free_sgpr 0
		.amdhsa_reserve_vcc 0
		.amdhsa_reserve_flat_scratch 0
		.amdhsa_float_round_mode_32 0
		.amdhsa_float_round_mode_16_64 0
		.amdhsa_float_denorm_mode_32 3
		.amdhsa_float_denorm_mode_16_64 3
		.amdhsa_dx10_clamp 1
		.amdhsa_ieee_mode 1
		.amdhsa_fp16_overflow 0
		.amdhsa_exception_fp_ieee_invalid_op 0
		.amdhsa_exception_fp_denorm_src 0
		.amdhsa_exception_fp_ieee_div_zero 0
		.amdhsa_exception_fp_ieee_overflow 0
		.amdhsa_exception_fp_ieee_underflow 0
		.amdhsa_exception_fp_ieee_inexact 0
		.amdhsa_exception_int_div_zero 0
	.end_amdhsa_kernel
	.section	.text._ZN7rocprim17ROCPRIM_400000_NS6detail17trampoline_kernelINS0_14default_configENS1_22reduce_config_selectorI18summary_stats_dataIfEEEZNS1_11reduce_implILb1ES3_PS6_S9_S6_23summary_stats_binary_opIfEEE10hipError_tPvRmT1_T2_T3_mT4_P12ihipStream_tbEUlT_E1_NS1_11comp_targetILNS1_3genE10ELNS1_11target_archE1201ELNS1_3gpuE5ELNS1_3repE0EEENS1_30default_config_static_selectorELNS0_4arch9wavefront6targetE1EEEvSF_,"axG",@progbits,_ZN7rocprim17ROCPRIM_400000_NS6detail17trampoline_kernelINS0_14default_configENS1_22reduce_config_selectorI18summary_stats_dataIfEEEZNS1_11reduce_implILb1ES3_PS6_S9_S6_23summary_stats_binary_opIfEEE10hipError_tPvRmT1_T2_T3_mT4_P12ihipStream_tbEUlT_E1_NS1_11comp_targetILNS1_3genE10ELNS1_11target_archE1201ELNS1_3gpuE5ELNS1_3repE0EEENS1_30default_config_static_selectorELNS0_4arch9wavefront6targetE1EEEvSF_,comdat
.Lfunc_end14:
	.size	_ZN7rocprim17ROCPRIM_400000_NS6detail17trampoline_kernelINS0_14default_configENS1_22reduce_config_selectorI18summary_stats_dataIfEEEZNS1_11reduce_implILb1ES3_PS6_S9_S6_23summary_stats_binary_opIfEEE10hipError_tPvRmT1_T2_T3_mT4_P12ihipStream_tbEUlT_E1_NS1_11comp_targetILNS1_3genE10ELNS1_11target_archE1201ELNS1_3gpuE5ELNS1_3repE0EEENS1_30default_config_static_selectorELNS0_4arch9wavefront6targetE1EEEvSF_, .Lfunc_end14-_ZN7rocprim17ROCPRIM_400000_NS6detail17trampoline_kernelINS0_14default_configENS1_22reduce_config_selectorI18summary_stats_dataIfEEEZNS1_11reduce_implILb1ES3_PS6_S9_S6_23summary_stats_binary_opIfEEE10hipError_tPvRmT1_T2_T3_mT4_P12ihipStream_tbEUlT_E1_NS1_11comp_targetILNS1_3genE10ELNS1_11target_archE1201ELNS1_3gpuE5ELNS1_3repE0EEENS1_30default_config_static_selectorELNS0_4arch9wavefront6targetE1EEEvSF_
                                        ; -- End function
	.set _ZN7rocprim17ROCPRIM_400000_NS6detail17trampoline_kernelINS0_14default_configENS1_22reduce_config_selectorI18summary_stats_dataIfEEEZNS1_11reduce_implILb1ES3_PS6_S9_S6_23summary_stats_binary_opIfEEE10hipError_tPvRmT1_T2_T3_mT4_P12ihipStream_tbEUlT_E1_NS1_11comp_targetILNS1_3genE10ELNS1_11target_archE1201ELNS1_3gpuE5ELNS1_3repE0EEENS1_30default_config_static_selectorELNS0_4arch9wavefront6targetE1EEEvSF_.num_vgpr, 0
	.set _ZN7rocprim17ROCPRIM_400000_NS6detail17trampoline_kernelINS0_14default_configENS1_22reduce_config_selectorI18summary_stats_dataIfEEEZNS1_11reduce_implILb1ES3_PS6_S9_S6_23summary_stats_binary_opIfEEE10hipError_tPvRmT1_T2_T3_mT4_P12ihipStream_tbEUlT_E1_NS1_11comp_targetILNS1_3genE10ELNS1_11target_archE1201ELNS1_3gpuE5ELNS1_3repE0EEENS1_30default_config_static_selectorELNS0_4arch9wavefront6targetE1EEEvSF_.num_agpr, 0
	.set _ZN7rocprim17ROCPRIM_400000_NS6detail17trampoline_kernelINS0_14default_configENS1_22reduce_config_selectorI18summary_stats_dataIfEEEZNS1_11reduce_implILb1ES3_PS6_S9_S6_23summary_stats_binary_opIfEEE10hipError_tPvRmT1_T2_T3_mT4_P12ihipStream_tbEUlT_E1_NS1_11comp_targetILNS1_3genE10ELNS1_11target_archE1201ELNS1_3gpuE5ELNS1_3repE0EEENS1_30default_config_static_selectorELNS0_4arch9wavefront6targetE1EEEvSF_.numbered_sgpr, 0
	.set _ZN7rocprim17ROCPRIM_400000_NS6detail17trampoline_kernelINS0_14default_configENS1_22reduce_config_selectorI18summary_stats_dataIfEEEZNS1_11reduce_implILb1ES3_PS6_S9_S6_23summary_stats_binary_opIfEEE10hipError_tPvRmT1_T2_T3_mT4_P12ihipStream_tbEUlT_E1_NS1_11comp_targetILNS1_3genE10ELNS1_11target_archE1201ELNS1_3gpuE5ELNS1_3repE0EEENS1_30default_config_static_selectorELNS0_4arch9wavefront6targetE1EEEvSF_.num_named_barrier, 0
	.set _ZN7rocprim17ROCPRIM_400000_NS6detail17trampoline_kernelINS0_14default_configENS1_22reduce_config_selectorI18summary_stats_dataIfEEEZNS1_11reduce_implILb1ES3_PS6_S9_S6_23summary_stats_binary_opIfEEE10hipError_tPvRmT1_T2_T3_mT4_P12ihipStream_tbEUlT_E1_NS1_11comp_targetILNS1_3genE10ELNS1_11target_archE1201ELNS1_3gpuE5ELNS1_3repE0EEENS1_30default_config_static_selectorELNS0_4arch9wavefront6targetE1EEEvSF_.private_seg_size, 0
	.set _ZN7rocprim17ROCPRIM_400000_NS6detail17trampoline_kernelINS0_14default_configENS1_22reduce_config_selectorI18summary_stats_dataIfEEEZNS1_11reduce_implILb1ES3_PS6_S9_S6_23summary_stats_binary_opIfEEE10hipError_tPvRmT1_T2_T3_mT4_P12ihipStream_tbEUlT_E1_NS1_11comp_targetILNS1_3genE10ELNS1_11target_archE1201ELNS1_3gpuE5ELNS1_3repE0EEENS1_30default_config_static_selectorELNS0_4arch9wavefront6targetE1EEEvSF_.uses_vcc, 0
	.set _ZN7rocprim17ROCPRIM_400000_NS6detail17trampoline_kernelINS0_14default_configENS1_22reduce_config_selectorI18summary_stats_dataIfEEEZNS1_11reduce_implILb1ES3_PS6_S9_S6_23summary_stats_binary_opIfEEE10hipError_tPvRmT1_T2_T3_mT4_P12ihipStream_tbEUlT_E1_NS1_11comp_targetILNS1_3genE10ELNS1_11target_archE1201ELNS1_3gpuE5ELNS1_3repE0EEENS1_30default_config_static_selectorELNS0_4arch9wavefront6targetE1EEEvSF_.uses_flat_scratch, 0
	.set _ZN7rocprim17ROCPRIM_400000_NS6detail17trampoline_kernelINS0_14default_configENS1_22reduce_config_selectorI18summary_stats_dataIfEEEZNS1_11reduce_implILb1ES3_PS6_S9_S6_23summary_stats_binary_opIfEEE10hipError_tPvRmT1_T2_T3_mT4_P12ihipStream_tbEUlT_E1_NS1_11comp_targetILNS1_3genE10ELNS1_11target_archE1201ELNS1_3gpuE5ELNS1_3repE0EEENS1_30default_config_static_selectorELNS0_4arch9wavefront6targetE1EEEvSF_.has_dyn_sized_stack, 0
	.set _ZN7rocprim17ROCPRIM_400000_NS6detail17trampoline_kernelINS0_14default_configENS1_22reduce_config_selectorI18summary_stats_dataIfEEEZNS1_11reduce_implILb1ES3_PS6_S9_S6_23summary_stats_binary_opIfEEE10hipError_tPvRmT1_T2_T3_mT4_P12ihipStream_tbEUlT_E1_NS1_11comp_targetILNS1_3genE10ELNS1_11target_archE1201ELNS1_3gpuE5ELNS1_3repE0EEENS1_30default_config_static_selectorELNS0_4arch9wavefront6targetE1EEEvSF_.has_recursion, 0
	.set _ZN7rocprim17ROCPRIM_400000_NS6detail17trampoline_kernelINS0_14default_configENS1_22reduce_config_selectorI18summary_stats_dataIfEEEZNS1_11reduce_implILb1ES3_PS6_S9_S6_23summary_stats_binary_opIfEEE10hipError_tPvRmT1_T2_T3_mT4_P12ihipStream_tbEUlT_E1_NS1_11comp_targetILNS1_3genE10ELNS1_11target_archE1201ELNS1_3gpuE5ELNS1_3repE0EEENS1_30default_config_static_selectorELNS0_4arch9wavefront6targetE1EEEvSF_.has_indirect_call, 0
	.section	.AMDGPU.csdata,"",@progbits
; Kernel info:
; codeLenInByte = 0
; TotalNumSgprs: 4
; NumVgprs: 0
; ScratchSize: 0
; MemoryBound: 0
; FloatMode: 240
; IeeeMode: 1
; LDSByteSize: 0 bytes/workgroup (compile time only)
; SGPRBlocks: 0
; VGPRBlocks: 0
; NumSGPRsForWavesPerEU: 4
; NumVGPRsForWavesPerEU: 1
; Occupancy: 10
; WaveLimiterHint : 0
; COMPUTE_PGM_RSRC2:SCRATCH_EN: 0
; COMPUTE_PGM_RSRC2:USER_SGPR: 6
; COMPUTE_PGM_RSRC2:TRAP_HANDLER: 0
; COMPUTE_PGM_RSRC2:TGID_X_EN: 1
; COMPUTE_PGM_RSRC2:TGID_Y_EN: 0
; COMPUTE_PGM_RSRC2:TGID_Z_EN: 0
; COMPUTE_PGM_RSRC2:TIDIG_COMP_CNT: 0
	.section	.text._ZN7rocprim17ROCPRIM_400000_NS6detail17trampoline_kernelINS0_14default_configENS1_22reduce_config_selectorI18summary_stats_dataIfEEEZNS1_11reduce_implILb1ES3_PS6_S9_S6_23summary_stats_binary_opIfEEE10hipError_tPvRmT1_T2_T3_mT4_P12ihipStream_tbEUlT_E1_NS1_11comp_targetILNS1_3genE10ELNS1_11target_archE1200ELNS1_3gpuE4ELNS1_3repE0EEENS1_30default_config_static_selectorELNS0_4arch9wavefront6targetE1EEEvSF_,"axG",@progbits,_ZN7rocprim17ROCPRIM_400000_NS6detail17trampoline_kernelINS0_14default_configENS1_22reduce_config_selectorI18summary_stats_dataIfEEEZNS1_11reduce_implILb1ES3_PS6_S9_S6_23summary_stats_binary_opIfEEE10hipError_tPvRmT1_T2_T3_mT4_P12ihipStream_tbEUlT_E1_NS1_11comp_targetILNS1_3genE10ELNS1_11target_archE1200ELNS1_3gpuE4ELNS1_3repE0EEENS1_30default_config_static_selectorELNS0_4arch9wavefront6targetE1EEEvSF_,comdat
	.protected	_ZN7rocprim17ROCPRIM_400000_NS6detail17trampoline_kernelINS0_14default_configENS1_22reduce_config_selectorI18summary_stats_dataIfEEEZNS1_11reduce_implILb1ES3_PS6_S9_S6_23summary_stats_binary_opIfEEE10hipError_tPvRmT1_T2_T3_mT4_P12ihipStream_tbEUlT_E1_NS1_11comp_targetILNS1_3genE10ELNS1_11target_archE1200ELNS1_3gpuE4ELNS1_3repE0EEENS1_30default_config_static_selectorELNS0_4arch9wavefront6targetE1EEEvSF_ ; -- Begin function _ZN7rocprim17ROCPRIM_400000_NS6detail17trampoline_kernelINS0_14default_configENS1_22reduce_config_selectorI18summary_stats_dataIfEEEZNS1_11reduce_implILb1ES3_PS6_S9_S6_23summary_stats_binary_opIfEEE10hipError_tPvRmT1_T2_T3_mT4_P12ihipStream_tbEUlT_E1_NS1_11comp_targetILNS1_3genE10ELNS1_11target_archE1200ELNS1_3gpuE4ELNS1_3repE0EEENS1_30default_config_static_selectorELNS0_4arch9wavefront6targetE1EEEvSF_
	.globl	_ZN7rocprim17ROCPRIM_400000_NS6detail17trampoline_kernelINS0_14default_configENS1_22reduce_config_selectorI18summary_stats_dataIfEEEZNS1_11reduce_implILb1ES3_PS6_S9_S6_23summary_stats_binary_opIfEEE10hipError_tPvRmT1_T2_T3_mT4_P12ihipStream_tbEUlT_E1_NS1_11comp_targetILNS1_3genE10ELNS1_11target_archE1200ELNS1_3gpuE4ELNS1_3repE0EEENS1_30default_config_static_selectorELNS0_4arch9wavefront6targetE1EEEvSF_
	.p2align	8
	.type	_ZN7rocprim17ROCPRIM_400000_NS6detail17trampoline_kernelINS0_14default_configENS1_22reduce_config_selectorI18summary_stats_dataIfEEEZNS1_11reduce_implILb1ES3_PS6_S9_S6_23summary_stats_binary_opIfEEE10hipError_tPvRmT1_T2_T3_mT4_P12ihipStream_tbEUlT_E1_NS1_11comp_targetILNS1_3genE10ELNS1_11target_archE1200ELNS1_3gpuE4ELNS1_3repE0EEENS1_30default_config_static_selectorELNS0_4arch9wavefront6targetE1EEEvSF_,@function
_ZN7rocprim17ROCPRIM_400000_NS6detail17trampoline_kernelINS0_14default_configENS1_22reduce_config_selectorI18summary_stats_dataIfEEEZNS1_11reduce_implILb1ES3_PS6_S9_S6_23summary_stats_binary_opIfEEE10hipError_tPvRmT1_T2_T3_mT4_P12ihipStream_tbEUlT_E1_NS1_11comp_targetILNS1_3genE10ELNS1_11target_archE1200ELNS1_3gpuE4ELNS1_3repE0EEENS1_30default_config_static_selectorELNS0_4arch9wavefront6targetE1EEEvSF_: ; @_ZN7rocprim17ROCPRIM_400000_NS6detail17trampoline_kernelINS0_14default_configENS1_22reduce_config_selectorI18summary_stats_dataIfEEEZNS1_11reduce_implILb1ES3_PS6_S9_S6_23summary_stats_binary_opIfEEE10hipError_tPvRmT1_T2_T3_mT4_P12ihipStream_tbEUlT_E1_NS1_11comp_targetILNS1_3genE10ELNS1_11target_archE1200ELNS1_3gpuE4ELNS1_3repE0EEENS1_30default_config_static_selectorELNS0_4arch9wavefront6targetE1EEEvSF_
; %bb.0:
	.section	.rodata,"a",@progbits
	.p2align	6, 0x0
	.amdhsa_kernel _ZN7rocprim17ROCPRIM_400000_NS6detail17trampoline_kernelINS0_14default_configENS1_22reduce_config_selectorI18summary_stats_dataIfEEEZNS1_11reduce_implILb1ES3_PS6_S9_S6_23summary_stats_binary_opIfEEE10hipError_tPvRmT1_T2_T3_mT4_P12ihipStream_tbEUlT_E1_NS1_11comp_targetILNS1_3genE10ELNS1_11target_archE1200ELNS1_3gpuE4ELNS1_3repE0EEENS1_30default_config_static_selectorELNS0_4arch9wavefront6targetE1EEEvSF_
		.amdhsa_group_segment_fixed_size 0
		.amdhsa_private_segment_fixed_size 0
		.amdhsa_kernarg_size 64
		.amdhsa_user_sgpr_count 6
		.amdhsa_user_sgpr_private_segment_buffer 1
		.amdhsa_user_sgpr_dispatch_ptr 0
		.amdhsa_user_sgpr_queue_ptr 0
		.amdhsa_user_sgpr_kernarg_segment_ptr 1
		.amdhsa_user_sgpr_dispatch_id 0
		.amdhsa_user_sgpr_flat_scratch_init 0
		.amdhsa_user_sgpr_private_segment_size 0
		.amdhsa_uses_dynamic_stack 0
		.amdhsa_system_sgpr_private_segment_wavefront_offset 0
		.amdhsa_system_sgpr_workgroup_id_x 1
		.amdhsa_system_sgpr_workgroup_id_y 0
		.amdhsa_system_sgpr_workgroup_id_z 0
		.amdhsa_system_sgpr_workgroup_info 0
		.amdhsa_system_vgpr_workitem_id 0
		.amdhsa_next_free_vgpr 1
		.amdhsa_next_free_sgpr 0
		.amdhsa_reserve_vcc 0
		.amdhsa_reserve_flat_scratch 0
		.amdhsa_float_round_mode_32 0
		.amdhsa_float_round_mode_16_64 0
		.amdhsa_float_denorm_mode_32 3
		.amdhsa_float_denorm_mode_16_64 3
		.amdhsa_dx10_clamp 1
		.amdhsa_ieee_mode 1
		.amdhsa_fp16_overflow 0
		.amdhsa_exception_fp_ieee_invalid_op 0
		.amdhsa_exception_fp_denorm_src 0
		.amdhsa_exception_fp_ieee_div_zero 0
		.amdhsa_exception_fp_ieee_overflow 0
		.amdhsa_exception_fp_ieee_underflow 0
		.amdhsa_exception_fp_ieee_inexact 0
		.amdhsa_exception_int_div_zero 0
	.end_amdhsa_kernel
	.section	.text._ZN7rocprim17ROCPRIM_400000_NS6detail17trampoline_kernelINS0_14default_configENS1_22reduce_config_selectorI18summary_stats_dataIfEEEZNS1_11reduce_implILb1ES3_PS6_S9_S6_23summary_stats_binary_opIfEEE10hipError_tPvRmT1_T2_T3_mT4_P12ihipStream_tbEUlT_E1_NS1_11comp_targetILNS1_3genE10ELNS1_11target_archE1200ELNS1_3gpuE4ELNS1_3repE0EEENS1_30default_config_static_selectorELNS0_4arch9wavefront6targetE1EEEvSF_,"axG",@progbits,_ZN7rocprim17ROCPRIM_400000_NS6detail17trampoline_kernelINS0_14default_configENS1_22reduce_config_selectorI18summary_stats_dataIfEEEZNS1_11reduce_implILb1ES3_PS6_S9_S6_23summary_stats_binary_opIfEEE10hipError_tPvRmT1_T2_T3_mT4_P12ihipStream_tbEUlT_E1_NS1_11comp_targetILNS1_3genE10ELNS1_11target_archE1200ELNS1_3gpuE4ELNS1_3repE0EEENS1_30default_config_static_selectorELNS0_4arch9wavefront6targetE1EEEvSF_,comdat
.Lfunc_end15:
	.size	_ZN7rocprim17ROCPRIM_400000_NS6detail17trampoline_kernelINS0_14default_configENS1_22reduce_config_selectorI18summary_stats_dataIfEEEZNS1_11reduce_implILb1ES3_PS6_S9_S6_23summary_stats_binary_opIfEEE10hipError_tPvRmT1_T2_T3_mT4_P12ihipStream_tbEUlT_E1_NS1_11comp_targetILNS1_3genE10ELNS1_11target_archE1200ELNS1_3gpuE4ELNS1_3repE0EEENS1_30default_config_static_selectorELNS0_4arch9wavefront6targetE1EEEvSF_, .Lfunc_end15-_ZN7rocprim17ROCPRIM_400000_NS6detail17trampoline_kernelINS0_14default_configENS1_22reduce_config_selectorI18summary_stats_dataIfEEEZNS1_11reduce_implILb1ES3_PS6_S9_S6_23summary_stats_binary_opIfEEE10hipError_tPvRmT1_T2_T3_mT4_P12ihipStream_tbEUlT_E1_NS1_11comp_targetILNS1_3genE10ELNS1_11target_archE1200ELNS1_3gpuE4ELNS1_3repE0EEENS1_30default_config_static_selectorELNS0_4arch9wavefront6targetE1EEEvSF_
                                        ; -- End function
	.set _ZN7rocprim17ROCPRIM_400000_NS6detail17trampoline_kernelINS0_14default_configENS1_22reduce_config_selectorI18summary_stats_dataIfEEEZNS1_11reduce_implILb1ES3_PS6_S9_S6_23summary_stats_binary_opIfEEE10hipError_tPvRmT1_T2_T3_mT4_P12ihipStream_tbEUlT_E1_NS1_11comp_targetILNS1_3genE10ELNS1_11target_archE1200ELNS1_3gpuE4ELNS1_3repE0EEENS1_30default_config_static_selectorELNS0_4arch9wavefront6targetE1EEEvSF_.num_vgpr, 0
	.set _ZN7rocprim17ROCPRIM_400000_NS6detail17trampoline_kernelINS0_14default_configENS1_22reduce_config_selectorI18summary_stats_dataIfEEEZNS1_11reduce_implILb1ES3_PS6_S9_S6_23summary_stats_binary_opIfEEE10hipError_tPvRmT1_T2_T3_mT4_P12ihipStream_tbEUlT_E1_NS1_11comp_targetILNS1_3genE10ELNS1_11target_archE1200ELNS1_3gpuE4ELNS1_3repE0EEENS1_30default_config_static_selectorELNS0_4arch9wavefront6targetE1EEEvSF_.num_agpr, 0
	.set _ZN7rocprim17ROCPRIM_400000_NS6detail17trampoline_kernelINS0_14default_configENS1_22reduce_config_selectorI18summary_stats_dataIfEEEZNS1_11reduce_implILb1ES3_PS6_S9_S6_23summary_stats_binary_opIfEEE10hipError_tPvRmT1_T2_T3_mT4_P12ihipStream_tbEUlT_E1_NS1_11comp_targetILNS1_3genE10ELNS1_11target_archE1200ELNS1_3gpuE4ELNS1_3repE0EEENS1_30default_config_static_selectorELNS0_4arch9wavefront6targetE1EEEvSF_.numbered_sgpr, 0
	.set _ZN7rocprim17ROCPRIM_400000_NS6detail17trampoline_kernelINS0_14default_configENS1_22reduce_config_selectorI18summary_stats_dataIfEEEZNS1_11reduce_implILb1ES3_PS6_S9_S6_23summary_stats_binary_opIfEEE10hipError_tPvRmT1_T2_T3_mT4_P12ihipStream_tbEUlT_E1_NS1_11comp_targetILNS1_3genE10ELNS1_11target_archE1200ELNS1_3gpuE4ELNS1_3repE0EEENS1_30default_config_static_selectorELNS0_4arch9wavefront6targetE1EEEvSF_.num_named_barrier, 0
	.set _ZN7rocprim17ROCPRIM_400000_NS6detail17trampoline_kernelINS0_14default_configENS1_22reduce_config_selectorI18summary_stats_dataIfEEEZNS1_11reduce_implILb1ES3_PS6_S9_S6_23summary_stats_binary_opIfEEE10hipError_tPvRmT1_T2_T3_mT4_P12ihipStream_tbEUlT_E1_NS1_11comp_targetILNS1_3genE10ELNS1_11target_archE1200ELNS1_3gpuE4ELNS1_3repE0EEENS1_30default_config_static_selectorELNS0_4arch9wavefront6targetE1EEEvSF_.private_seg_size, 0
	.set _ZN7rocprim17ROCPRIM_400000_NS6detail17trampoline_kernelINS0_14default_configENS1_22reduce_config_selectorI18summary_stats_dataIfEEEZNS1_11reduce_implILb1ES3_PS6_S9_S6_23summary_stats_binary_opIfEEE10hipError_tPvRmT1_T2_T3_mT4_P12ihipStream_tbEUlT_E1_NS1_11comp_targetILNS1_3genE10ELNS1_11target_archE1200ELNS1_3gpuE4ELNS1_3repE0EEENS1_30default_config_static_selectorELNS0_4arch9wavefront6targetE1EEEvSF_.uses_vcc, 0
	.set _ZN7rocprim17ROCPRIM_400000_NS6detail17trampoline_kernelINS0_14default_configENS1_22reduce_config_selectorI18summary_stats_dataIfEEEZNS1_11reduce_implILb1ES3_PS6_S9_S6_23summary_stats_binary_opIfEEE10hipError_tPvRmT1_T2_T3_mT4_P12ihipStream_tbEUlT_E1_NS1_11comp_targetILNS1_3genE10ELNS1_11target_archE1200ELNS1_3gpuE4ELNS1_3repE0EEENS1_30default_config_static_selectorELNS0_4arch9wavefront6targetE1EEEvSF_.uses_flat_scratch, 0
	.set _ZN7rocprim17ROCPRIM_400000_NS6detail17trampoline_kernelINS0_14default_configENS1_22reduce_config_selectorI18summary_stats_dataIfEEEZNS1_11reduce_implILb1ES3_PS6_S9_S6_23summary_stats_binary_opIfEEE10hipError_tPvRmT1_T2_T3_mT4_P12ihipStream_tbEUlT_E1_NS1_11comp_targetILNS1_3genE10ELNS1_11target_archE1200ELNS1_3gpuE4ELNS1_3repE0EEENS1_30default_config_static_selectorELNS0_4arch9wavefront6targetE1EEEvSF_.has_dyn_sized_stack, 0
	.set _ZN7rocprim17ROCPRIM_400000_NS6detail17trampoline_kernelINS0_14default_configENS1_22reduce_config_selectorI18summary_stats_dataIfEEEZNS1_11reduce_implILb1ES3_PS6_S9_S6_23summary_stats_binary_opIfEEE10hipError_tPvRmT1_T2_T3_mT4_P12ihipStream_tbEUlT_E1_NS1_11comp_targetILNS1_3genE10ELNS1_11target_archE1200ELNS1_3gpuE4ELNS1_3repE0EEENS1_30default_config_static_selectorELNS0_4arch9wavefront6targetE1EEEvSF_.has_recursion, 0
	.set _ZN7rocprim17ROCPRIM_400000_NS6detail17trampoline_kernelINS0_14default_configENS1_22reduce_config_selectorI18summary_stats_dataIfEEEZNS1_11reduce_implILb1ES3_PS6_S9_S6_23summary_stats_binary_opIfEEE10hipError_tPvRmT1_T2_T3_mT4_P12ihipStream_tbEUlT_E1_NS1_11comp_targetILNS1_3genE10ELNS1_11target_archE1200ELNS1_3gpuE4ELNS1_3repE0EEENS1_30default_config_static_selectorELNS0_4arch9wavefront6targetE1EEEvSF_.has_indirect_call, 0
	.section	.AMDGPU.csdata,"",@progbits
; Kernel info:
; codeLenInByte = 0
; TotalNumSgprs: 4
; NumVgprs: 0
; ScratchSize: 0
; MemoryBound: 0
; FloatMode: 240
; IeeeMode: 1
; LDSByteSize: 0 bytes/workgroup (compile time only)
; SGPRBlocks: 0
; VGPRBlocks: 0
; NumSGPRsForWavesPerEU: 4
; NumVGPRsForWavesPerEU: 1
; Occupancy: 10
; WaveLimiterHint : 0
; COMPUTE_PGM_RSRC2:SCRATCH_EN: 0
; COMPUTE_PGM_RSRC2:USER_SGPR: 6
; COMPUTE_PGM_RSRC2:TRAP_HANDLER: 0
; COMPUTE_PGM_RSRC2:TGID_X_EN: 1
; COMPUTE_PGM_RSRC2:TGID_Y_EN: 0
; COMPUTE_PGM_RSRC2:TGID_Z_EN: 0
; COMPUTE_PGM_RSRC2:TIDIG_COMP_CNT: 0
	.section	.text._ZN7rocprim17ROCPRIM_400000_NS6detail17trampoline_kernelINS0_14default_configENS1_22reduce_config_selectorI18summary_stats_dataIfEEEZNS1_11reduce_implILb1ES3_PS6_S9_S6_23summary_stats_binary_opIfEEE10hipError_tPvRmT1_T2_T3_mT4_P12ihipStream_tbEUlT_E1_NS1_11comp_targetILNS1_3genE9ELNS1_11target_archE1100ELNS1_3gpuE3ELNS1_3repE0EEENS1_30default_config_static_selectorELNS0_4arch9wavefront6targetE1EEEvSF_,"axG",@progbits,_ZN7rocprim17ROCPRIM_400000_NS6detail17trampoline_kernelINS0_14default_configENS1_22reduce_config_selectorI18summary_stats_dataIfEEEZNS1_11reduce_implILb1ES3_PS6_S9_S6_23summary_stats_binary_opIfEEE10hipError_tPvRmT1_T2_T3_mT4_P12ihipStream_tbEUlT_E1_NS1_11comp_targetILNS1_3genE9ELNS1_11target_archE1100ELNS1_3gpuE3ELNS1_3repE0EEENS1_30default_config_static_selectorELNS0_4arch9wavefront6targetE1EEEvSF_,comdat
	.protected	_ZN7rocprim17ROCPRIM_400000_NS6detail17trampoline_kernelINS0_14default_configENS1_22reduce_config_selectorI18summary_stats_dataIfEEEZNS1_11reduce_implILb1ES3_PS6_S9_S6_23summary_stats_binary_opIfEEE10hipError_tPvRmT1_T2_T3_mT4_P12ihipStream_tbEUlT_E1_NS1_11comp_targetILNS1_3genE9ELNS1_11target_archE1100ELNS1_3gpuE3ELNS1_3repE0EEENS1_30default_config_static_selectorELNS0_4arch9wavefront6targetE1EEEvSF_ ; -- Begin function _ZN7rocprim17ROCPRIM_400000_NS6detail17trampoline_kernelINS0_14default_configENS1_22reduce_config_selectorI18summary_stats_dataIfEEEZNS1_11reduce_implILb1ES3_PS6_S9_S6_23summary_stats_binary_opIfEEE10hipError_tPvRmT1_T2_T3_mT4_P12ihipStream_tbEUlT_E1_NS1_11comp_targetILNS1_3genE9ELNS1_11target_archE1100ELNS1_3gpuE3ELNS1_3repE0EEENS1_30default_config_static_selectorELNS0_4arch9wavefront6targetE1EEEvSF_
	.globl	_ZN7rocprim17ROCPRIM_400000_NS6detail17trampoline_kernelINS0_14default_configENS1_22reduce_config_selectorI18summary_stats_dataIfEEEZNS1_11reduce_implILb1ES3_PS6_S9_S6_23summary_stats_binary_opIfEEE10hipError_tPvRmT1_T2_T3_mT4_P12ihipStream_tbEUlT_E1_NS1_11comp_targetILNS1_3genE9ELNS1_11target_archE1100ELNS1_3gpuE3ELNS1_3repE0EEENS1_30default_config_static_selectorELNS0_4arch9wavefront6targetE1EEEvSF_
	.p2align	8
	.type	_ZN7rocprim17ROCPRIM_400000_NS6detail17trampoline_kernelINS0_14default_configENS1_22reduce_config_selectorI18summary_stats_dataIfEEEZNS1_11reduce_implILb1ES3_PS6_S9_S6_23summary_stats_binary_opIfEEE10hipError_tPvRmT1_T2_T3_mT4_P12ihipStream_tbEUlT_E1_NS1_11comp_targetILNS1_3genE9ELNS1_11target_archE1100ELNS1_3gpuE3ELNS1_3repE0EEENS1_30default_config_static_selectorELNS0_4arch9wavefront6targetE1EEEvSF_,@function
_ZN7rocprim17ROCPRIM_400000_NS6detail17trampoline_kernelINS0_14default_configENS1_22reduce_config_selectorI18summary_stats_dataIfEEEZNS1_11reduce_implILb1ES3_PS6_S9_S6_23summary_stats_binary_opIfEEE10hipError_tPvRmT1_T2_T3_mT4_P12ihipStream_tbEUlT_E1_NS1_11comp_targetILNS1_3genE9ELNS1_11target_archE1100ELNS1_3gpuE3ELNS1_3repE0EEENS1_30default_config_static_selectorELNS0_4arch9wavefront6targetE1EEEvSF_: ; @_ZN7rocprim17ROCPRIM_400000_NS6detail17trampoline_kernelINS0_14default_configENS1_22reduce_config_selectorI18summary_stats_dataIfEEEZNS1_11reduce_implILb1ES3_PS6_S9_S6_23summary_stats_binary_opIfEEE10hipError_tPvRmT1_T2_T3_mT4_P12ihipStream_tbEUlT_E1_NS1_11comp_targetILNS1_3genE9ELNS1_11target_archE1100ELNS1_3gpuE3ELNS1_3repE0EEENS1_30default_config_static_selectorELNS0_4arch9wavefront6targetE1EEEvSF_
; %bb.0:
	.section	.rodata,"a",@progbits
	.p2align	6, 0x0
	.amdhsa_kernel _ZN7rocprim17ROCPRIM_400000_NS6detail17trampoline_kernelINS0_14default_configENS1_22reduce_config_selectorI18summary_stats_dataIfEEEZNS1_11reduce_implILb1ES3_PS6_S9_S6_23summary_stats_binary_opIfEEE10hipError_tPvRmT1_T2_T3_mT4_P12ihipStream_tbEUlT_E1_NS1_11comp_targetILNS1_3genE9ELNS1_11target_archE1100ELNS1_3gpuE3ELNS1_3repE0EEENS1_30default_config_static_selectorELNS0_4arch9wavefront6targetE1EEEvSF_
		.amdhsa_group_segment_fixed_size 0
		.amdhsa_private_segment_fixed_size 0
		.amdhsa_kernarg_size 64
		.amdhsa_user_sgpr_count 6
		.amdhsa_user_sgpr_private_segment_buffer 1
		.amdhsa_user_sgpr_dispatch_ptr 0
		.amdhsa_user_sgpr_queue_ptr 0
		.amdhsa_user_sgpr_kernarg_segment_ptr 1
		.amdhsa_user_sgpr_dispatch_id 0
		.amdhsa_user_sgpr_flat_scratch_init 0
		.amdhsa_user_sgpr_private_segment_size 0
		.amdhsa_uses_dynamic_stack 0
		.amdhsa_system_sgpr_private_segment_wavefront_offset 0
		.amdhsa_system_sgpr_workgroup_id_x 1
		.amdhsa_system_sgpr_workgroup_id_y 0
		.amdhsa_system_sgpr_workgroup_id_z 0
		.amdhsa_system_sgpr_workgroup_info 0
		.amdhsa_system_vgpr_workitem_id 0
		.amdhsa_next_free_vgpr 1
		.amdhsa_next_free_sgpr 0
		.amdhsa_reserve_vcc 0
		.amdhsa_reserve_flat_scratch 0
		.amdhsa_float_round_mode_32 0
		.amdhsa_float_round_mode_16_64 0
		.amdhsa_float_denorm_mode_32 3
		.amdhsa_float_denorm_mode_16_64 3
		.amdhsa_dx10_clamp 1
		.amdhsa_ieee_mode 1
		.amdhsa_fp16_overflow 0
		.amdhsa_exception_fp_ieee_invalid_op 0
		.amdhsa_exception_fp_denorm_src 0
		.amdhsa_exception_fp_ieee_div_zero 0
		.amdhsa_exception_fp_ieee_overflow 0
		.amdhsa_exception_fp_ieee_underflow 0
		.amdhsa_exception_fp_ieee_inexact 0
		.amdhsa_exception_int_div_zero 0
	.end_amdhsa_kernel
	.section	.text._ZN7rocprim17ROCPRIM_400000_NS6detail17trampoline_kernelINS0_14default_configENS1_22reduce_config_selectorI18summary_stats_dataIfEEEZNS1_11reduce_implILb1ES3_PS6_S9_S6_23summary_stats_binary_opIfEEE10hipError_tPvRmT1_T2_T3_mT4_P12ihipStream_tbEUlT_E1_NS1_11comp_targetILNS1_3genE9ELNS1_11target_archE1100ELNS1_3gpuE3ELNS1_3repE0EEENS1_30default_config_static_selectorELNS0_4arch9wavefront6targetE1EEEvSF_,"axG",@progbits,_ZN7rocprim17ROCPRIM_400000_NS6detail17trampoline_kernelINS0_14default_configENS1_22reduce_config_selectorI18summary_stats_dataIfEEEZNS1_11reduce_implILb1ES3_PS6_S9_S6_23summary_stats_binary_opIfEEE10hipError_tPvRmT1_T2_T3_mT4_P12ihipStream_tbEUlT_E1_NS1_11comp_targetILNS1_3genE9ELNS1_11target_archE1100ELNS1_3gpuE3ELNS1_3repE0EEENS1_30default_config_static_selectorELNS0_4arch9wavefront6targetE1EEEvSF_,comdat
.Lfunc_end16:
	.size	_ZN7rocprim17ROCPRIM_400000_NS6detail17trampoline_kernelINS0_14default_configENS1_22reduce_config_selectorI18summary_stats_dataIfEEEZNS1_11reduce_implILb1ES3_PS6_S9_S6_23summary_stats_binary_opIfEEE10hipError_tPvRmT1_T2_T3_mT4_P12ihipStream_tbEUlT_E1_NS1_11comp_targetILNS1_3genE9ELNS1_11target_archE1100ELNS1_3gpuE3ELNS1_3repE0EEENS1_30default_config_static_selectorELNS0_4arch9wavefront6targetE1EEEvSF_, .Lfunc_end16-_ZN7rocprim17ROCPRIM_400000_NS6detail17trampoline_kernelINS0_14default_configENS1_22reduce_config_selectorI18summary_stats_dataIfEEEZNS1_11reduce_implILb1ES3_PS6_S9_S6_23summary_stats_binary_opIfEEE10hipError_tPvRmT1_T2_T3_mT4_P12ihipStream_tbEUlT_E1_NS1_11comp_targetILNS1_3genE9ELNS1_11target_archE1100ELNS1_3gpuE3ELNS1_3repE0EEENS1_30default_config_static_selectorELNS0_4arch9wavefront6targetE1EEEvSF_
                                        ; -- End function
	.set _ZN7rocprim17ROCPRIM_400000_NS6detail17trampoline_kernelINS0_14default_configENS1_22reduce_config_selectorI18summary_stats_dataIfEEEZNS1_11reduce_implILb1ES3_PS6_S9_S6_23summary_stats_binary_opIfEEE10hipError_tPvRmT1_T2_T3_mT4_P12ihipStream_tbEUlT_E1_NS1_11comp_targetILNS1_3genE9ELNS1_11target_archE1100ELNS1_3gpuE3ELNS1_3repE0EEENS1_30default_config_static_selectorELNS0_4arch9wavefront6targetE1EEEvSF_.num_vgpr, 0
	.set _ZN7rocprim17ROCPRIM_400000_NS6detail17trampoline_kernelINS0_14default_configENS1_22reduce_config_selectorI18summary_stats_dataIfEEEZNS1_11reduce_implILb1ES3_PS6_S9_S6_23summary_stats_binary_opIfEEE10hipError_tPvRmT1_T2_T3_mT4_P12ihipStream_tbEUlT_E1_NS1_11comp_targetILNS1_3genE9ELNS1_11target_archE1100ELNS1_3gpuE3ELNS1_3repE0EEENS1_30default_config_static_selectorELNS0_4arch9wavefront6targetE1EEEvSF_.num_agpr, 0
	.set _ZN7rocprim17ROCPRIM_400000_NS6detail17trampoline_kernelINS0_14default_configENS1_22reduce_config_selectorI18summary_stats_dataIfEEEZNS1_11reduce_implILb1ES3_PS6_S9_S6_23summary_stats_binary_opIfEEE10hipError_tPvRmT1_T2_T3_mT4_P12ihipStream_tbEUlT_E1_NS1_11comp_targetILNS1_3genE9ELNS1_11target_archE1100ELNS1_3gpuE3ELNS1_3repE0EEENS1_30default_config_static_selectorELNS0_4arch9wavefront6targetE1EEEvSF_.numbered_sgpr, 0
	.set _ZN7rocprim17ROCPRIM_400000_NS6detail17trampoline_kernelINS0_14default_configENS1_22reduce_config_selectorI18summary_stats_dataIfEEEZNS1_11reduce_implILb1ES3_PS6_S9_S6_23summary_stats_binary_opIfEEE10hipError_tPvRmT1_T2_T3_mT4_P12ihipStream_tbEUlT_E1_NS1_11comp_targetILNS1_3genE9ELNS1_11target_archE1100ELNS1_3gpuE3ELNS1_3repE0EEENS1_30default_config_static_selectorELNS0_4arch9wavefront6targetE1EEEvSF_.num_named_barrier, 0
	.set _ZN7rocprim17ROCPRIM_400000_NS6detail17trampoline_kernelINS0_14default_configENS1_22reduce_config_selectorI18summary_stats_dataIfEEEZNS1_11reduce_implILb1ES3_PS6_S9_S6_23summary_stats_binary_opIfEEE10hipError_tPvRmT1_T2_T3_mT4_P12ihipStream_tbEUlT_E1_NS1_11comp_targetILNS1_3genE9ELNS1_11target_archE1100ELNS1_3gpuE3ELNS1_3repE0EEENS1_30default_config_static_selectorELNS0_4arch9wavefront6targetE1EEEvSF_.private_seg_size, 0
	.set _ZN7rocprim17ROCPRIM_400000_NS6detail17trampoline_kernelINS0_14default_configENS1_22reduce_config_selectorI18summary_stats_dataIfEEEZNS1_11reduce_implILb1ES3_PS6_S9_S6_23summary_stats_binary_opIfEEE10hipError_tPvRmT1_T2_T3_mT4_P12ihipStream_tbEUlT_E1_NS1_11comp_targetILNS1_3genE9ELNS1_11target_archE1100ELNS1_3gpuE3ELNS1_3repE0EEENS1_30default_config_static_selectorELNS0_4arch9wavefront6targetE1EEEvSF_.uses_vcc, 0
	.set _ZN7rocprim17ROCPRIM_400000_NS6detail17trampoline_kernelINS0_14default_configENS1_22reduce_config_selectorI18summary_stats_dataIfEEEZNS1_11reduce_implILb1ES3_PS6_S9_S6_23summary_stats_binary_opIfEEE10hipError_tPvRmT1_T2_T3_mT4_P12ihipStream_tbEUlT_E1_NS1_11comp_targetILNS1_3genE9ELNS1_11target_archE1100ELNS1_3gpuE3ELNS1_3repE0EEENS1_30default_config_static_selectorELNS0_4arch9wavefront6targetE1EEEvSF_.uses_flat_scratch, 0
	.set _ZN7rocprim17ROCPRIM_400000_NS6detail17trampoline_kernelINS0_14default_configENS1_22reduce_config_selectorI18summary_stats_dataIfEEEZNS1_11reduce_implILb1ES3_PS6_S9_S6_23summary_stats_binary_opIfEEE10hipError_tPvRmT1_T2_T3_mT4_P12ihipStream_tbEUlT_E1_NS1_11comp_targetILNS1_3genE9ELNS1_11target_archE1100ELNS1_3gpuE3ELNS1_3repE0EEENS1_30default_config_static_selectorELNS0_4arch9wavefront6targetE1EEEvSF_.has_dyn_sized_stack, 0
	.set _ZN7rocprim17ROCPRIM_400000_NS6detail17trampoline_kernelINS0_14default_configENS1_22reduce_config_selectorI18summary_stats_dataIfEEEZNS1_11reduce_implILb1ES3_PS6_S9_S6_23summary_stats_binary_opIfEEE10hipError_tPvRmT1_T2_T3_mT4_P12ihipStream_tbEUlT_E1_NS1_11comp_targetILNS1_3genE9ELNS1_11target_archE1100ELNS1_3gpuE3ELNS1_3repE0EEENS1_30default_config_static_selectorELNS0_4arch9wavefront6targetE1EEEvSF_.has_recursion, 0
	.set _ZN7rocprim17ROCPRIM_400000_NS6detail17trampoline_kernelINS0_14default_configENS1_22reduce_config_selectorI18summary_stats_dataIfEEEZNS1_11reduce_implILb1ES3_PS6_S9_S6_23summary_stats_binary_opIfEEE10hipError_tPvRmT1_T2_T3_mT4_P12ihipStream_tbEUlT_E1_NS1_11comp_targetILNS1_3genE9ELNS1_11target_archE1100ELNS1_3gpuE3ELNS1_3repE0EEENS1_30default_config_static_selectorELNS0_4arch9wavefront6targetE1EEEvSF_.has_indirect_call, 0
	.section	.AMDGPU.csdata,"",@progbits
; Kernel info:
; codeLenInByte = 0
; TotalNumSgprs: 4
; NumVgprs: 0
; ScratchSize: 0
; MemoryBound: 0
; FloatMode: 240
; IeeeMode: 1
; LDSByteSize: 0 bytes/workgroup (compile time only)
; SGPRBlocks: 0
; VGPRBlocks: 0
; NumSGPRsForWavesPerEU: 4
; NumVGPRsForWavesPerEU: 1
; Occupancy: 10
; WaveLimiterHint : 0
; COMPUTE_PGM_RSRC2:SCRATCH_EN: 0
; COMPUTE_PGM_RSRC2:USER_SGPR: 6
; COMPUTE_PGM_RSRC2:TRAP_HANDLER: 0
; COMPUTE_PGM_RSRC2:TGID_X_EN: 1
; COMPUTE_PGM_RSRC2:TGID_Y_EN: 0
; COMPUTE_PGM_RSRC2:TGID_Z_EN: 0
; COMPUTE_PGM_RSRC2:TIDIG_COMP_CNT: 0
	.section	.text._ZN7rocprim17ROCPRIM_400000_NS6detail17trampoline_kernelINS0_14default_configENS1_22reduce_config_selectorI18summary_stats_dataIfEEEZNS1_11reduce_implILb1ES3_PS6_S9_S6_23summary_stats_binary_opIfEEE10hipError_tPvRmT1_T2_T3_mT4_P12ihipStream_tbEUlT_E1_NS1_11comp_targetILNS1_3genE8ELNS1_11target_archE1030ELNS1_3gpuE2ELNS1_3repE0EEENS1_30default_config_static_selectorELNS0_4arch9wavefront6targetE1EEEvSF_,"axG",@progbits,_ZN7rocprim17ROCPRIM_400000_NS6detail17trampoline_kernelINS0_14default_configENS1_22reduce_config_selectorI18summary_stats_dataIfEEEZNS1_11reduce_implILb1ES3_PS6_S9_S6_23summary_stats_binary_opIfEEE10hipError_tPvRmT1_T2_T3_mT4_P12ihipStream_tbEUlT_E1_NS1_11comp_targetILNS1_3genE8ELNS1_11target_archE1030ELNS1_3gpuE2ELNS1_3repE0EEENS1_30default_config_static_selectorELNS0_4arch9wavefront6targetE1EEEvSF_,comdat
	.protected	_ZN7rocprim17ROCPRIM_400000_NS6detail17trampoline_kernelINS0_14default_configENS1_22reduce_config_selectorI18summary_stats_dataIfEEEZNS1_11reduce_implILb1ES3_PS6_S9_S6_23summary_stats_binary_opIfEEE10hipError_tPvRmT1_T2_T3_mT4_P12ihipStream_tbEUlT_E1_NS1_11comp_targetILNS1_3genE8ELNS1_11target_archE1030ELNS1_3gpuE2ELNS1_3repE0EEENS1_30default_config_static_selectorELNS0_4arch9wavefront6targetE1EEEvSF_ ; -- Begin function _ZN7rocprim17ROCPRIM_400000_NS6detail17trampoline_kernelINS0_14default_configENS1_22reduce_config_selectorI18summary_stats_dataIfEEEZNS1_11reduce_implILb1ES3_PS6_S9_S6_23summary_stats_binary_opIfEEE10hipError_tPvRmT1_T2_T3_mT4_P12ihipStream_tbEUlT_E1_NS1_11comp_targetILNS1_3genE8ELNS1_11target_archE1030ELNS1_3gpuE2ELNS1_3repE0EEENS1_30default_config_static_selectorELNS0_4arch9wavefront6targetE1EEEvSF_
	.globl	_ZN7rocprim17ROCPRIM_400000_NS6detail17trampoline_kernelINS0_14default_configENS1_22reduce_config_selectorI18summary_stats_dataIfEEEZNS1_11reduce_implILb1ES3_PS6_S9_S6_23summary_stats_binary_opIfEEE10hipError_tPvRmT1_T2_T3_mT4_P12ihipStream_tbEUlT_E1_NS1_11comp_targetILNS1_3genE8ELNS1_11target_archE1030ELNS1_3gpuE2ELNS1_3repE0EEENS1_30default_config_static_selectorELNS0_4arch9wavefront6targetE1EEEvSF_
	.p2align	8
	.type	_ZN7rocprim17ROCPRIM_400000_NS6detail17trampoline_kernelINS0_14default_configENS1_22reduce_config_selectorI18summary_stats_dataIfEEEZNS1_11reduce_implILb1ES3_PS6_S9_S6_23summary_stats_binary_opIfEEE10hipError_tPvRmT1_T2_T3_mT4_P12ihipStream_tbEUlT_E1_NS1_11comp_targetILNS1_3genE8ELNS1_11target_archE1030ELNS1_3gpuE2ELNS1_3repE0EEENS1_30default_config_static_selectorELNS0_4arch9wavefront6targetE1EEEvSF_,@function
_ZN7rocprim17ROCPRIM_400000_NS6detail17trampoline_kernelINS0_14default_configENS1_22reduce_config_selectorI18summary_stats_dataIfEEEZNS1_11reduce_implILb1ES3_PS6_S9_S6_23summary_stats_binary_opIfEEE10hipError_tPvRmT1_T2_T3_mT4_P12ihipStream_tbEUlT_E1_NS1_11comp_targetILNS1_3genE8ELNS1_11target_archE1030ELNS1_3gpuE2ELNS1_3repE0EEENS1_30default_config_static_selectorELNS0_4arch9wavefront6targetE1EEEvSF_: ; @_ZN7rocprim17ROCPRIM_400000_NS6detail17trampoline_kernelINS0_14default_configENS1_22reduce_config_selectorI18summary_stats_dataIfEEEZNS1_11reduce_implILb1ES3_PS6_S9_S6_23summary_stats_binary_opIfEEE10hipError_tPvRmT1_T2_T3_mT4_P12ihipStream_tbEUlT_E1_NS1_11comp_targetILNS1_3genE8ELNS1_11target_archE1030ELNS1_3gpuE2ELNS1_3repE0EEENS1_30default_config_static_selectorELNS0_4arch9wavefront6targetE1EEEvSF_
; %bb.0:
	.section	.rodata,"a",@progbits
	.p2align	6, 0x0
	.amdhsa_kernel _ZN7rocprim17ROCPRIM_400000_NS6detail17trampoline_kernelINS0_14default_configENS1_22reduce_config_selectorI18summary_stats_dataIfEEEZNS1_11reduce_implILb1ES3_PS6_S9_S6_23summary_stats_binary_opIfEEE10hipError_tPvRmT1_T2_T3_mT4_P12ihipStream_tbEUlT_E1_NS1_11comp_targetILNS1_3genE8ELNS1_11target_archE1030ELNS1_3gpuE2ELNS1_3repE0EEENS1_30default_config_static_selectorELNS0_4arch9wavefront6targetE1EEEvSF_
		.amdhsa_group_segment_fixed_size 0
		.amdhsa_private_segment_fixed_size 0
		.amdhsa_kernarg_size 64
		.amdhsa_user_sgpr_count 6
		.amdhsa_user_sgpr_private_segment_buffer 1
		.amdhsa_user_sgpr_dispatch_ptr 0
		.amdhsa_user_sgpr_queue_ptr 0
		.amdhsa_user_sgpr_kernarg_segment_ptr 1
		.amdhsa_user_sgpr_dispatch_id 0
		.amdhsa_user_sgpr_flat_scratch_init 0
		.amdhsa_user_sgpr_private_segment_size 0
		.amdhsa_uses_dynamic_stack 0
		.amdhsa_system_sgpr_private_segment_wavefront_offset 0
		.amdhsa_system_sgpr_workgroup_id_x 1
		.amdhsa_system_sgpr_workgroup_id_y 0
		.amdhsa_system_sgpr_workgroup_id_z 0
		.amdhsa_system_sgpr_workgroup_info 0
		.amdhsa_system_vgpr_workitem_id 0
		.amdhsa_next_free_vgpr 1
		.amdhsa_next_free_sgpr 0
		.amdhsa_reserve_vcc 0
		.amdhsa_reserve_flat_scratch 0
		.amdhsa_float_round_mode_32 0
		.amdhsa_float_round_mode_16_64 0
		.amdhsa_float_denorm_mode_32 3
		.amdhsa_float_denorm_mode_16_64 3
		.amdhsa_dx10_clamp 1
		.amdhsa_ieee_mode 1
		.amdhsa_fp16_overflow 0
		.amdhsa_exception_fp_ieee_invalid_op 0
		.amdhsa_exception_fp_denorm_src 0
		.amdhsa_exception_fp_ieee_div_zero 0
		.amdhsa_exception_fp_ieee_overflow 0
		.amdhsa_exception_fp_ieee_underflow 0
		.amdhsa_exception_fp_ieee_inexact 0
		.amdhsa_exception_int_div_zero 0
	.end_amdhsa_kernel
	.section	.text._ZN7rocprim17ROCPRIM_400000_NS6detail17trampoline_kernelINS0_14default_configENS1_22reduce_config_selectorI18summary_stats_dataIfEEEZNS1_11reduce_implILb1ES3_PS6_S9_S6_23summary_stats_binary_opIfEEE10hipError_tPvRmT1_T2_T3_mT4_P12ihipStream_tbEUlT_E1_NS1_11comp_targetILNS1_3genE8ELNS1_11target_archE1030ELNS1_3gpuE2ELNS1_3repE0EEENS1_30default_config_static_selectorELNS0_4arch9wavefront6targetE1EEEvSF_,"axG",@progbits,_ZN7rocprim17ROCPRIM_400000_NS6detail17trampoline_kernelINS0_14default_configENS1_22reduce_config_selectorI18summary_stats_dataIfEEEZNS1_11reduce_implILb1ES3_PS6_S9_S6_23summary_stats_binary_opIfEEE10hipError_tPvRmT1_T2_T3_mT4_P12ihipStream_tbEUlT_E1_NS1_11comp_targetILNS1_3genE8ELNS1_11target_archE1030ELNS1_3gpuE2ELNS1_3repE0EEENS1_30default_config_static_selectorELNS0_4arch9wavefront6targetE1EEEvSF_,comdat
.Lfunc_end17:
	.size	_ZN7rocprim17ROCPRIM_400000_NS6detail17trampoline_kernelINS0_14default_configENS1_22reduce_config_selectorI18summary_stats_dataIfEEEZNS1_11reduce_implILb1ES3_PS6_S9_S6_23summary_stats_binary_opIfEEE10hipError_tPvRmT1_T2_T3_mT4_P12ihipStream_tbEUlT_E1_NS1_11comp_targetILNS1_3genE8ELNS1_11target_archE1030ELNS1_3gpuE2ELNS1_3repE0EEENS1_30default_config_static_selectorELNS0_4arch9wavefront6targetE1EEEvSF_, .Lfunc_end17-_ZN7rocprim17ROCPRIM_400000_NS6detail17trampoline_kernelINS0_14default_configENS1_22reduce_config_selectorI18summary_stats_dataIfEEEZNS1_11reduce_implILb1ES3_PS6_S9_S6_23summary_stats_binary_opIfEEE10hipError_tPvRmT1_T2_T3_mT4_P12ihipStream_tbEUlT_E1_NS1_11comp_targetILNS1_3genE8ELNS1_11target_archE1030ELNS1_3gpuE2ELNS1_3repE0EEENS1_30default_config_static_selectorELNS0_4arch9wavefront6targetE1EEEvSF_
                                        ; -- End function
	.set _ZN7rocprim17ROCPRIM_400000_NS6detail17trampoline_kernelINS0_14default_configENS1_22reduce_config_selectorI18summary_stats_dataIfEEEZNS1_11reduce_implILb1ES3_PS6_S9_S6_23summary_stats_binary_opIfEEE10hipError_tPvRmT1_T2_T3_mT4_P12ihipStream_tbEUlT_E1_NS1_11comp_targetILNS1_3genE8ELNS1_11target_archE1030ELNS1_3gpuE2ELNS1_3repE0EEENS1_30default_config_static_selectorELNS0_4arch9wavefront6targetE1EEEvSF_.num_vgpr, 0
	.set _ZN7rocprim17ROCPRIM_400000_NS6detail17trampoline_kernelINS0_14default_configENS1_22reduce_config_selectorI18summary_stats_dataIfEEEZNS1_11reduce_implILb1ES3_PS6_S9_S6_23summary_stats_binary_opIfEEE10hipError_tPvRmT1_T2_T3_mT4_P12ihipStream_tbEUlT_E1_NS1_11comp_targetILNS1_3genE8ELNS1_11target_archE1030ELNS1_3gpuE2ELNS1_3repE0EEENS1_30default_config_static_selectorELNS0_4arch9wavefront6targetE1EEEvSF_.num_agpr, 0
	.set _ZN7rocprim17ROCPRIM_400000_NS6detail17trampoline_kernelINS0_14default_configENS1_22reduce_config_selectorI18summary_stats_dataIfEEEZNS1_11reduce_implILb1ES3_PS6_S9_S6_23summary_stats_binary_opIfEEE10hipError_tPvRmT1_T2_T3_mT4_P12ihipStream_tbEUlT_E1_NS1_11comp_targetILNS1_3genE8ELNS1_11target_archE1030ELNS1_3gpuE2ELNS1_3repE0EEENS1_30default_config_static_selectorELNS0_4arch9wavefront6targetE1EEEvSF_.numbered_sgpr, 0
	.set _ZN7rocprim17ROCPRIM_400000_NS6detail17trampoline_kernelINS0_14default_configENS1_22reduce_config_selectorI18summary_stats_dataIfEEEZNS1_11reduce_implILb1ES3_PS6_S9_S6_23summary_stats_binary_opIfEEE10hipError_tPvRmT1_T2_T3_mT4_P12ihipStream_tbEUlT_E1_NS1_11comp_targetILNS1_3genE8ELNS1_11target_archE1030ELNS1_3gpuE2ELNS1_3repE0EEENS1_30default_config_static_selectorELNS0_4arch9wavefront6targetE1EEEvSF_.num_named_barrier, 0
	.set _ZN7rocprim17ROCPRIM_400000_NS6detail17trampoline_kernelINS0_14default_configENS1_22reduce_config_selectorI18summary_stats_dataIfEEEZNS1_11reduce_implILb1ES3_PS6_S9_S6_23summary_stats_binary_opIfEEE10hipError_tPvRmT1_T2_T3_mT4_P12ihipStream_tbEUlT_E1_NS1_11comp_targetILNS1_3genE8ELNS1_11target_archE1030ELNS1_3gpuE2ELNS1_3repE0EEENS1_30default_config_static_selectorELNS0_4arch9wavefront6targetE1EEEvSF_.private_seg_size, 0
	.set _ZN7rocprim17ROCPRIM_400000_NS6detail17trampoline_kernelINS0_14default_configENS1_22reduce_config_selectorI18summary_stats_dataIfEEEZNS1_11reduce_implILb1ES3_PS6_S9_S6_23summary_stats_binary_opIfEEE10hipError_tPvRmT1_T2_T3_mT4_P12ihipStream_tbEUlT_E1_NS1_11comp_targetILNS1_3genE8ELNS1_11target_archE1030ELNS1_3gpuE2ELNS1_3repE0EEENS1_30default_config_static_selectorELNS0_4arch9wavefront6targetE1EEEvSF_.uses_vcc, 0
	.set _ZN7rocprim17ROCPRIM_400000_NS6detail17trampoline_kernelINS0_14default_configENS1_22reduce_config_selectorI18summary_stats_dataIfEEEZNS1_11reduce_implILb1ES3_PS6_S9_S6_23summary_stats_binary_opIfEEE10hipError_tPvRmT1_T2_T3_mT4_P12ihipStream_tbEUlT_E1_NS1_11comp_targetILNS1_3genE8ELNS1_11target_archE1030ELNS1_3gpuE2ELNS1_3repE0EEENS1_30default_config_static_selectorELNS0_4arch9wavefront6targetE1EEEvSF_.uses_flat_scratch, 0
	.set _ZN7rocprim17ROCPRIM_400000_NS6detail17trampoline_kernelINS0_14default_configENS1_22reduce_config_selectorI18summary_stats_dataIfEEEZNS1_11reduce_implILb1ES3_PS6_S9_S6_23summary_stats_binary_opIfEEE10hipError_tPvRmT1_T2_T3_mT4_P12ihipStream_tbEUlT_E1_NS1_11comp_targetILNS1_3genE8ELNS1_11target_archE1030ELNS1_3gpuE2ELNS1_3repE0EEENS1_30default_config_static_selectorELNS0_4arch9wavefront6targetE1EEEvSF_.has_dyn_sized_stack, 0
	.set _ZN7rocprim17ROCPRIM_400000_NS6detail17trampoline_kernelINS0_14default_configENS1_22reduce_config_selectorI18summary_stats_dataIfEEEZNS1_11reduce_implILb1ES3_PS6_S9_S6_23summary_stats_binary_opIfEEE10hipError_tPvRmT1_T2_T3_mT4_P12ihipStream_tbEUlT_E1_NS1_11comp_targetILNS1_3genE8ELNS1_11target_archE1030ELNS1_3gpuE2ELNS1_3repE0EEENS1_30default_config_static_selectorELNS0_4arch9wavefront6targetE1EEEvSF_.has_recursion, 0
	.set _ZN7rocprim17ROCPRIM_400000_NS6detail17trampoline_kernelINS0_14default_configENS1_22reduce_config_selectorI18summary_stats_dataIfEEEZNS1_11reduce_implILb1ES3_PS6_S9_S6_23summary_stats_binary_opIfEEE10hipError_tPvRmT1_T2_T3_mT4_P12ihipStream_tbEUlT_E1_NS1_11comp_targetILNS1_3genE8ELNS1_11target_archE1030ELNS1_3gpuE2ELNS1_3repE0EEENS1_30default_config_static_selectorELNS0_4arch9wavefront6targetE1EEEvSF_.has_indirect_call, 0
	.section	.AMDGPU.csdata,"",@progbits
; Kernel info:
; codeLenInByte = 0
; TotalNumSgprs: 4
; NumVgprs: 0
; ScratchSize: 0
; MemoryBound: 0
; FloatMode: 240
; IeeeMode: 1
; LDSByteSize: 0 bytes/workgroup (compile time only)
; SGPRBlocks: 0
; VGPRBlocks: 0
; NumSGPRsForWavesPerEU: 4
; NumVGPRsForWavesPerEU: 1
; Occupancy: 10
; WaveLimiterHint : 0
; COMPUTE_PGM_RSRC2:SCRATCH_EN: 0
; COMPUTE_PGM_RSRC2:USER_SGPR: 6
; COMPUTE_PGM_RSRC2:TRAP_HANDLER: 0
; COMPUTE_PGM_RSRC2:TGID_X_EN: 1
; COMPUTE_PGM_RSRC2:TGID_Y_EN: 0
; COMPUTE_PGM_RSRC2:TGID_Z_EN: 0
; COMPUTE_PGM_RSRC2:TIDIG_COMP_CNT: 0
	.section	.text._ZN7rocprim17ROCPRIM_400000_NS6detail17trampoline_kernelINS0_14default_configENS1_22reduce_config_selectorI18summary_stats_dataIfEEEZNS1_11reduce_implILb1ES3_N6thrust23THRUST_200600_302600_NS11hip_rocprim26transform_input_iterator_tIS6_NSA_6detail15normal_iteratorINSA_10device_ptrIfEEEE22summary_stats_unary_opIfEEEPS6_S6_23summary_stats_binary_opIfEEE10hipError_tPvRmT1_T2_T3_mT4_P12ihipStream_tbEUlT_E0_NS1_11comp_targetILNS1_3genE0ELNS1_11target_archE4294967295ELNS1_3gpuE0ELNS1_3repE0EEENS1_30default_config_static_selectorELNS0_4arch9wavefront6targetE1EEEvSR_,"axG",@progbits,_ZN7rocprim17ROCPRIM_400000_NS6detail17trampoline_kernelINS0_14default_configENS1_22reduce_config_selectorI18summary_stats_dataIfEEEZNS1_11reduce_implILb1ES3_N6thrust23THRUST_200600_302600_NS11hip_rocprim26transform_input_iterator_tIS6_NSA_6detail15normal_iteratorINSA_10device_ptrIfEEEE22summary_stats_unary_opIfEEEPS6_S6_23summary_stats_binary_opIfEEE10hipError_tPvRmT1_T2_T3_mT4_P12ihipStream_tbEUlT_E0_NS1_11comp_targetILNS1_3genE0ELNS1_11target_archE4294967295ELNS1_3gpuE0ELNS1_3repE0EEENS1_30default_config_static_selectorELNS0_4arch9wavefront6targetE1EEEvSR_,comdat
	.protected	_ZN7rocprim17ROCPRIM_400000_NS6detail17trampoline_kernelINS0_14default_configENS1_22reduce_config_selectorI18summary_stats_dataIfEEEZNS1_11reduce_implILb1ES3_N6thrust23THRUST_200600_302600_NS11hip_rocprim26transform_input_iterator_tIS6_NSA_6detail15normal_iteratorINSA_10device_ptrIfEEEE22summary_stats_unary_opIfEEEPS6_S6_23summary_stats_binary_opIfEEE10hipError_tPvRmT1_T2_T3_mT4_P12ihipStream_tbEUlT_E0_NS1_11comp_targetILNS1_3genE0ELNS1_11target_archE4294967295ELNS1_3gpuE0ELNS1_3repE0EEENS1_30default_config_static_selectorELNS0_4arch9wavefront6targetE1EEEvSR_ ; -- Begin function _ZN7rocprim17ROCPRIM_400000_NS6detail17trampoline_kernelINS0_14default_configENS1_22reduce_config_selectorI18summary_stats_dataIfEEEZNS1_11reduce_implILb1ES3_N6thrust23THRUST_200600_302600_NS11hip_rocprim26transform_input_iterator_tIS6_NSA_6detail15normal_iteratorINSA_10device_ptrIfEEEE22summary_stats_unary_opIfEEEPS6_S6_23summary_stats_binary_opIfEEE10hipError_tPvRmT1_T2_T3_mT4_P12ihipStream_tbEUlT_E0_NS1_11comp_targetILNS1_3genE0ELNS1_11target_archE4294967295ELNS1_3gpuE0ELNS1_3repE0EEENS1_30default_config_static_selectorELNS0_4arch9wavefront6targetE1EEEvSR_
	.globl	_ZN7rocprim17ROCPRIM_400000_NS6detail17trampoline_kernelINS0_14default_configENS1_22reduce_config_selectorI18summary_stats_dataIfEEEZNS1_11reduce_implILb1ES3_N6thrust23THRUST_200600_302600_NS11hip_rocprim26transform_input_iterator_tIS6_NSA_6detail15normal_iteratorINSA_10device_ptrIfEEEE22summary_stats_unary_opIfEEEPS6_S6_23summary_stats_binary_opIfEEE10hipError_tPvRmT1_T2_T3_mT4_P12ihipStream_tbEUlT_E0_NS1_11comp_targetILNS1_3genE0ELNS1_11target_archE4294967295ELNS1_3gpuE0ELNS1_3repE0EEENS1_30default_config_static_selectorELNS0_4arch9wavefront6targetE1EEEvSR_
	.p2align	8
	.type	_ZN7rocprim17ROCPRIM_400000_NS6detail17trampoline_kernelINS0_14default_configENS1_22reduce_config_selectorI18summary_stats_dataIfEEEZNS1_11reduce_implILb1ES3_N6thrust23THRUST_200600_302600_NS11hip_rocprim26transform_input_iterator_tIS6_NSA_6detail15normal_iteratorINSA_10device_ptrIfEEEE22summary_stats_unary_opIfEEEPS6_S6_23summary_stats_binary_opIfEEE10hipError_tPvRmT1_T2_T3_mT4_P12ihipStream_tbEUlT_E0_NS1_11comp_targetILNS1_3genE0ELNS1_11target_archE4294967295ELNS1_3gpuE0ELNS1_3repE0EEENS1_30default_config_static_selectorELNS0_4arch9wavefront6targetE1EEEvSR_,@function
_ZN7rocprim17ROCPRIM_400000_NS6detail17trampoline_kernelINS0_14default_configENS1_22reduce_config_selectorI18summary_stats_dataIfEEEZNS1_11reduce_implILb1ES3_N6thrust23THRUST_200600_302600_NS11hip_rocprim26transform_input_iterator_tIS6_NSA_6detail15normal_iteratorINSA_10device_ptrIfEEEE22summary_stats_unary_opIfEEEPS6_S6_23summary_stats_binary_opIfEEE10hipError_tPvRmT1_T2_T3_mT4_P12ihipStream_tbEUlT_E0_NS1_11comp_targetILNS1_3genE0ELNS1_11target_archE4294967295ELNS1_3gpuE0ELNS1_3repE0EEENS1_30default_config_static_selectorELNS0_4arch9wavefront6targetE1EEEvSR_: ; @_ZN7rocprim17ROCPRIM_400000_NS6detail17trampoline_kernelINS0_14default_configENS1_22reduce_config_selectorI18summary_stats_dataIfEEEZNS1_11reduce_implILb1ES3_N6thrust23THRUST_200600_302600_NS11hip_rocprim26transform_input_iterator_tIS6_NSA_6detail15normal_iteratorINSA_10device_ptrIfEEEE22summary_stats_unary_opIfEEEPS6_S6_23summary_stats_binary_opIfEEE10hipError_tPvRmT1_T2_T3_mT4_P12ihipStream_tbEUlT_E0_NS1_11comp_targetILNS1_3genE0ELNS1_11target_archE4294967295ELNS1_3gpuE0ELNS1_3repE0EEENS1_30default_config_static_selectorELNS0_4arch9wavefront6targetE1EEEvSR_
; %bb.0:
	.section	.rodata,"a",@progbits
	.p2align	6, 0x0
	.amdhsa_kernel _ZN7rocprim17ROCPRIM_400000_NS6detail17trampoline_kernelINS0_14default_configENS1_22reduce_config_selectorI18summary_stats_dataIfEEEZNS1_11reduce_implILb1ES3_N6thrust23THRUST_200600_302600_NS11hip_rocprim26transform_input_iterator_tIS6_NSA_6detail15normal_iteratorINSA_10device_ptrIfEEEE22summary_stats_unary_opIfEEEPS6_S6_23summary_stats_binary_opIfEEE10hipError_tPvRmT1_T2_T3_mT4_P12ihipStream_tbEUlT_E0_NS1_11comp_targetILNS1_3genE0ELNS1_11target_archE4294967295ELNS1_3gpuE0ELNS1_3repE0EEENS1_30default_config_static_selectorELNS0_4arch9wavefront6targetE1EEEvSR_
		.amdhsa_group_segment_fixed_size 0
		.amdhsa_private_segment_fixed_size 0
		.amdhsa_kernarg_size 88
		.amdhsa_user_sgpr_count 6
		.amdhsa_user_sgpr_private_segment_buffer 1
		.amdhsa_user_sgpr_dispatch_ptr 0
		.amdhsa_user_sgpr_queue_ptr 0
		.amdhsa_user_sgpr_kernarg_segment_ptr 1
		.amdhsa_user_sgpr_dispatch_id 0
		.amdhsa_user_sgpr_flat_scratch_init 0
		.amdhsa_user_sgpr_private_segment_size 0
		.amdhsa_uses_dynamic_stack 0
		.amdhsa_system_sgpr_private_segment_wavefront_offset 0
		.amdhsa_system_sgpr_workgroup_id_x 1
		.amdhsa_system_sgpr_workgroup_id_y 0
		.amdhsa_system_sgpr_workgroup_id_z 0
		.amdhsa_system_sgpr_workgroup_info 0
		.amdhsa_system_vgpr_workitem_id 0
		.amdhsa_next_free_vgpr 1
		.amdhsa_next_free_sgpr 0
		.amdhsa_reserve_vcc 0
		.amdhsa_reserve_flat_scratch 0
		.amdhsa_float_round_mode_32 0
		.amdhsa_float_round_mode_16_64 0
		.amdhsa_float_denorm_mode_32 3
		.amdhsa_float_denorm_mode_16_64 3
		.amdhsa_dx10_clamp 1
		.amdhsa_ieee_mode 1
		.amdhsa_fp16_overflow 0
		.amdhsa_exception_fp_ieee_invalid_op 0
		.amdhsa_exception_fp_denorm_src 0
		.amdhsa_exception_fp_ieee_div_zero 0
		.amdhsa_exception_fp_ieee_overflow 0
		.amdhsa_exception_fp_ieee_underflow 0
		.amdhsa_exception_fp_ieee_inexact 0
		.amdhsa_exception_int_div_zero 0
	.end_amdhsa_kernel
	.section	.text._ZN7rocprim17ROCPRIM_400000_NS6detail17trampoline_kernelINS0_14default_configENS1_22reduce_config_selectorI18summary_stats_dataIfEEEZNS1_11reduce_implILb1ES3_N6thrust23THRUST_200600_302600_NS11hip_rocprim26transform_input_iterator_tIS6_NSA_6detail15normal_iteratorINSA_10device_ptrIfEEEE22summary_stats_unary_opIfEEEPS6_S6_23summary_stats_binary_opIfEEE10hipError_tPvRmT1_T2_T3_mT4_P12ihipStream_tbEUlT_E0_NS1_11comp_targetILNS1_3genE0ELNS1_11target_archE4294967295ELNS1_3gpuE0ELNS1_3repE0EEENS1_30default_config_static_selectorELNS0_4arch9wavefront6targetE1EEEvSR_,"axG",@progbits,_ZN7rocprim17ROCPRIM_400000_NS6detail17trampoline_kernelINS0_14default_configENS1_22reduce_config_selectorI18summary_stats_dataIfEEEZNS1_11reduce_implILb1ES3_N6thrust23THRUST_200600_302600_NS11hip_rocprim26transform_input_iterator_tIS6_NSA_6detail15normal_iteratorINSA_10device_ptrIfEEEE22summary_stats_unary_opIfEEEPS6_S6_23summary_stats_binary_opIfEEE10hipError_tPvRmT1_T2_T3_mT4_P12ihipStream_tbEUlT_E0_NS1_11comp_targetILNS1_3genE0ELNS1_11target_archE4294967295ELNS1_3gpuE0ELNS1_3repE0EEENS1_30default_config_static_selectorELNS0_4arch9wavefront6targetE1EEEvSR_,comdat
.Lfunc_end18:
	.size	_ZN7rocprim17ROCPRIM_400000_NS6detail17trampoline_kernelINS0_14default_configENS1_22reduce_config_selectorI18summary_stats_dataIfEEEZNS1_11reduce_implILb1ES3_N6thrust23THRUST_200600_302600_NS11hip_rocprim26transform_input_iterator_tIS6_NSA_6detail15normal_iteratorINSA_10device_ptrIfEEEE22summary_stats_unary_opIfEEEPS6_S6_23summary_stats_binary_opIfEEE10hipError_tPvRmT1_T2_T3_mT4_P12ihipStream_tbEUlT_E0_NS1_11comp_targetILNS1_3genE0ELNS1_11target_archE4294967295ELNS1_3gpuE0ELNS1_3repE0EEENS1_30default_config_static_selectorELNS0_4arch9wavefront6targetE1EEEvSR_, .Lfunc_end18-_ZN7rocprim17ROCPRIM_400000_NS6detail17trampoline_kernelINS0_14default_configENS1_22reduce_config_selectorI18summary_stats_dataIfEEEZNS1_11reduce_implILb1ES3_N6thrust23THRUST_200600_302600_NS11hip_rocprim26transform_input_iterator_tIS6_NSA_6detail15normal_iteratorINSA_10device_ptrIfEEEE22summary_stats_unary_opIfEEEPS6_S6_23summary_stats_binary_opIfEEE10hipError_tPvRmT1_T2_T3_mT4_P12ihipStream_tbEUlT_E0_NS1_11comp_targetILNS1_3genE0ELNS1_11target_archE4294967295ELNS1_3gpuE0ELNS1_3repE0EEENS1_30default_config_static_selectorELNS0_4arch9wavefront6targetE1EEEvSR_
                                        ; -- End function
	.set _ZN7rocprim17ROCPRIM_400000_NS6detail17trampoline_kernelINS0_14default_configENS1_22reduce_config_selectorI18summary_stats_dataIfEEEZNS1_11reduce_implILb1ES3_N6thrust23THRUST_200600_302600_NS11hip_rocprim26transform_input_iterator_tIS6_NSA_6detail15normal_iteratorINSA_10device_ptrIfEEEE22summary_stats_unary_opIfEEEPS6_S6_23summary_stats_binary_opIfEEE10hipError_tPvRmT1_T2_T3_mT4_P12ihipStream_tbEUlT_E0_NS1_11comp_targetILNS1_3genE0ELNS1_11target_archE4294967295ELNS1_3gpuE0ELNS1_3repE0EEENS1_30default_config_static_selectorELNS0_4arch9wavefront6targetE1EEEvSR_.num_vgpr, 0
	.set _ZN7rocprim17ROCPRIM_400000_NS6detail17trampoline_kernelINS0_14default_configENS1_22reduce_config_selectorI18summary_stats_dataIfEEEZNS1_11reduce_implILb1ES3_N6thrust23THRUST_200600_302600_NS11hip_rocprim26transform_input_iterator_tIS6_NSA_6detail15normal_iteratorINSA_10device_ptrIfEEEE22summary_stats_unary_opIfEEEPS6_S6_23summary_stats_binary_opIfEEE10hipError_tPvRmT1_T2_T3_mT4_P12ihipStream_tbEUlT_E0_NS1_11comp_targetILNS1_3genE0ELNS1_11target_archE4294967295ELNS1_3gpuE0ELNS1_3repE0EEENS1_30default_config_static_selectorELNS0_4arch9wavefront6targetE1EEEvSR_.num_agpr, 0
	.set _ZN7rocprim17ROCPRIM_400000_NS6detail17trampoline_kernelINS0_14default_configENS1_22reduce_config_selectorI18summary_stats_dataIfEEEZNS1_11reduce_implILb1ES3_N6thrust23THRUST_200600_302600_NS11hip_rocprim26transform_input_iterator_tIS6_NSA_6detail15normal_iteratorINSA_10device_ptrIfEEEE22summary_stats_unary_opIfEEEPS6_S6_23summary_stats_binary_opIfEEE10hipError_tPvRmT1_T2_T3_mT4_P12ihipStream_tbEUlT_E0_NS1_11comp_targetILNS1_3genE0ELNS1_11target_archE4294967295ELNS1_3gpuE0ELNS1_3repE0EEENS1_30default_config_static_selectorELNS0_4arch9wavefront6targetE1EEEvSR_.numbered_sgpr, 0
	.set _ZN7rocprim17ROCPRIM_400000_NS6detail17trampoline_kernelINS0_14default_configENS1_22reduce_config_selectorI18summary_stats_dataIfEEEZNS1_11reduce_implILb1ES3_N6thrust23THRUST_200600_302600_NS11hip_rocprim26transform_input_iterator_tIS6_NSA_6detail15normal_iteratorINSA_10device_ptrIfEEEE22summary_stats_unary_opIfEEEPS6_S6_23summary_stats_binary_opIfEEE10hipError_tPvRmT1_T2_T3_mT4_P12ihipStream_tbEUlT_E0_NS1_11comp_targetILNS1_3genE0ELNS1_11target_archE4294967295ELNS1_3gpuE0ELNS1_3repE0EEENS1_30default_config_static_selectorELNS0_4arch9wavefront6targetE1EEEvSR_.num_named_barrier, 0
	.set _ZN7rocprim17ROCPRIM_400000_NS6detail17trampoline_kernelINS0_14default_configENS1_22reduce_config_selectorI18summary_stats_dataIfEEEZNS1_11reduce_implILb1ES3_N6thrust23THRUST_200600_302600_NS11hip_rocprim26transform_input_iterator_tIS6_NSA_6detail15normal_iteratorINSA_10device_ptrIfEEEE22summary_stats_unary_opIfEEEPS6_S6_23summary_stats_binary_opIfEEE10hipError_tPvRmT1_T2_T3_mT4_P12ihipStream_tbEUlT_E0_NS1_11comp_targetILNS1_3genE0ELNS1_11target_archE4294967295ELNS1_3gpuE0ELNS1_3repE0EEENS1_30default_config_static_selectorELNS0_4arch9wavefront6targetE1EEEvSR_.private_seg_size, 0
	.set _ZN7rocprim17ROCPRIM_400000_NS6detail17trampoline_kernelINS0_14default_configENS1_22reduce_config_selectorI18summary_stats_dataIfEEEZNS1_11reduce_implILb1ES3_N6thrust23THRUST_200600_302600_NS11hip_rocprim26transform_input_iterator_tIS6_NSA_6detail15normal_iteratorINSA_10device_ptrIfEEEE22summary_stats_unary_opIfEEEPS6_S6_23summary_stats_binary_opIfEEE10hipError_tPvRmT1_T2_T3_mT4_P12ihipStream_tbEUlT_E0_NS1_11comp_targetILNS1_3genE0ELNS1_11target_archE4294967295ELNS1_3gpuE0ELNS1_3repE0EEENS1_30default_config_static_selectorELNS0_4arch9wavefront6targetE1EEEvSR_.uses_vcc, 0
	.set _ZN7rocprim17ROCPRIM_400000_NS6detail17trampoline_kernelINS0_14default_configENS1_22reduce_config_selectorI18summary_stats_dataIfEEEZNS1_11reduce_implILb1ES3_N6thrust23THRUST_200600_302600_NS11hip_rocprim26transform_input_iterator_tIS6_NSA_6detail15normal_iteratorINSA_10device_ptrIfEEEE22summary_stats_unary_opIfEEEPS6_S6_23summary_stats_binary_opIfEEE10hipError_tPvRmT1_T2_T3_mT4_P12ihipStream_tbEUlT_E0_NS1_11comp_targetILNS1_3genE0ELNS1_11target_archE4294967295ELNS1_3gpuE0ELNS1_3repE0EEENS1_30default_config_static_selectorELNS0_4arch9wavefront6targetE1EEEvSR_.uses_flat_scratch, 0
	.set _ZN7rocprim17ROCPRIM_400000_NS6detail17trampoline_kernelINS0_14default_configENS1_22reduce_config_selectorI18summary_stats_dataIfEEEZNS1_11reduce_implILb1ES3_N6thrust23THRUST_200600_302600_NS11hip_rocprim26transform_input_iterator_tIS6_NSA_6detail15normal_iteratorINSA_10device_ptrIfEEEE22summary_stats_unary_opIfEEEPS6_S6_23summary_stats_binary_opIfEEE10hipError_tPvRmT1_T2_T3_mT4_P12ihipStream_tbEUlT_E0_NS1_11comp_targetILNS1_3genE0ELNS1_11target_archE4294967295ELNS1_3gpuE0ELNS1_3repE0EEENS1_30default_config_static_selectorELNS0_4arch9wavefront6targetE1EEEvSR_.has_dyn_sized_stack, 0
	.set _ZN7rocprim17ROCPRIM_400000_NS6detail17trampoline_kernelINS0_14default_configENS1_22reduce_config_selectorI18summary_stats_dataIfEEEZNS1_11reduce_implILb1ES3_N6thrust23THRUST_200600_302600_NS11hip_rocprim26transform_input_iterator_tIS6_NSA_6detail15normal_iteratorINSA_10device_ptrIfEEEE22summary_stats_unary_opIfEEEPS6_S6_23summary_stats_binary_opIfEEE10hipError_tPvRmT1_T2_T3_mT4_P12ihipStream_tbEUlT_E0_NS1_11comp_targetILNS1_3genE0ELNS1_11target_archE4294967295ELNS1_3gpuE0ELNS1_3repE0EEENS1_30default_config_static_selectorELNS0_4arch9wavefront6targetE1EEEvSR_.has_recursion, 0
	.set _ZN7rocprim17ROCPRIM_400000_NS6detail17trampoline_kernelINS0_14default_configENS1_22reduce_config_selectorI18summary_stats_dataIfEEEZNS1_11reduce_implILb1ES3_N6thrust23THRUST_200600_302600_NS11hip_rocprim26transform_input_iterator_tIS6_NSA_6detail15normal_iteratorINSA_10device_ptrIfEEEE22summary_stats_unary_opIfEEEPS6_S6_23summary_stats_binary_opIfEEE10hipError_tPvRmT1_T2_T3_mT4_P12ihipStream_tbEUlT_E0_NS1_11comp_targetILNS1_3genE0ELNS1_11target_archE4294967295ELNS1_3gpuE0ELNS1_3repE0EEENS1_30default_config_static_selectorELNS0_4arch9wavefront6targetE1EEEvSR_.has_indirect_call, 0
	.section	.AMDGPU.csdata,"",@progbits
; Kernel info:
; codeLenInByte = 0
; TotalNumSgprs: 4
; NumVgprs: 0
; ScratchSize: 0
; MemoryBound: 0
; FloatMode: 240
; IeeeMode: 1
; LDSByteSize: 0 bytes/workgroup (compile time only)
; SGPRBlocks: 0
; VGPRBlocks: 0
; NumSGPRsForWavesPerEU: 4
; NumVGPRsForWavesPerEU: 1
; Occupancy: 10
; WaveLimiterHint : 0
; COMPUTE_PGM_RSRC2:SCRATCH_EN: 0
; COMPUTE_PGM_RSRC2:USER_SGPR: 6
; COMPUTE_PGM_RSRC2:TRAP_HANDLER: 0
; COMPUTE_PGM_RSRC2:TGID_X_EN: 1
; COMPUTE_PGM_RSRC2:TGID_Y_EN: 0
; COMPUTE_PGM_RSRC2:TGID_Z_EN: 0
; COMPUTE_PGM_RSRC2:TIDIG_COMP_CNT: 0
	.section	.text._ZN7rocprim17ROCPRIM_400000_NS6detail17trampoline_kernelINS0_14default_configENS1_22reduce_config_selectorI18summary_stats_dataIfEEEZNS1_11reduce_implILb1ES3_N6thrust23THRUST_200600_302600_NS11hip_rocprim26transform_input_iterator_tIS6_NSA_6detail15normal_iteratorINSA_10device_ptrIfEEEE22summary_stats_unary_opIfEEEPS6_S6_23summary_stats_binary_opIfEEE10hipError_tPvRmT1_T2_T3_mT4_P12ihipStream_tbEUlT_E0_NS1_11comp_targetILNS1_3genE5ELNS1_11target_archE942ELNS1_3gpuE9ELNS1_3repE0EEENS1_30default_config_static_selectorELNS0_4arch9wavefront6targetE1EEEvSR_,"axG",@progbits,_ZN7rocprim17ROCPRIM_400000_NS6detail17trampoline_kernelINS0_14default_configENS1_22reduce_config_selectorI18summary_stats_dataIfEEEZNS1_11reduce_implILb1ES3_N6thrust23THRUST_200600_302600_NS11hip_rocprim26transform_input_iterator_tIS6_NSA_6detail15normal_iteratorINSA_10device_ptrIfEEEE22summary_stats_unary_opIfEEEPS6_S6_23summary_stats_binary_opIfEEE10hipError_tPvRmT1_T2_T3_mT4_P12ihipStream_tbEUlT_E0_NS1_11comp_targetILNS1_3genE5ELNS1_11target_archE942ELNS1_3gpuE9ELNS1_3repE0EEENS1_30default_config_static_selectorELNS0_4arch9wavefront6targetE1EEEvSR_,comdat
	.protected	_ZN7rocprim17ROCPRIM_400000_NS6detail17trampoline_kernelINS0_14default_configENS1_22reduce_config_selectorI18summary_stats_dataIfEEEZNS1_11reduce_implILb1ES3_N6thrust23THRUST_200600_302600_NS11hip_rocprim26transform_input_iterator_tIS6_NSA_6detail15normal_iteratorINSA_10device_ptrIfEEEE22summary_stats_unary_opIfEEEPS6_S6_23summary_stats_binary_opIfEEE10hipError_tPvRmT1_T2_T3_mT4_P12ihipStream_tbEUlT_E0_NS1_11comp_targetILNS1_3genE5ELNS1_11target_archE942ELNS1_3gpuE9ELNS1_3repE0EEENS1_30default_config_static_selectorELNS0_4arch9wavefront6targetE1EEEvSR_ ; -- Begin function _ZN7rocprim17ROCPRIM_400000_NS6detail17trampoline_kernelINS0_14default_configENS1_22reduce_config_selectorI18summary_stats_dataIfEEEZNS1_11reduce_implILb1ES3_N6thrust23THRUST_200600_302600_NS11hip_rocprim26transform_input_iterator_tIS6_NSA_6detail15normal_iteratorINSA_10device_ptrIfEEEE22summary_stats_unary_opIfEEEPS6_S6_23summary_stats_binary_opIfEEE10hipError_tPvRmT1_T2_T3_mT4_P12ihipStream_tbEUlT_E0_NS1_11comp_targetILNS1_3genE5ELNS1_11target_archE942ELNS1_3gpuE9ELNS1_3repE0EEENS1_30default_config_static_selectorELNS0_4arch9wavefront6targetE1EEEvSR_
	.globl	_ZN7rocprim17ROCPRIM_400000_NS6detail17trampoline_kernelINS0_14default_configENS1_22reduce_config_selectorI18summary_stats_dataIfEEEZNS1_11reduce_implILb1ES3_N6thrust23THRUST_200600_302600_NS11hip_rocprim26transform_input_iterator_tIS6_NSA_6detail15normal_iteratorINSA_10device_ptrIfEEEE22summary_stats_unary_opIfEEEPS6_S6_23summary_stats_binary_opIfEEE10hipError_tPvRmT1_T2_T3_mT4_P12ihipStream_tbEUlT_E0_NS1_11comp_targetILNS1_3genE5ELNS1_11target_archE942ELNS1_3gpuE9ELNS1_3repE0EEENS1_30default_config_static_selectorELNS0_4arch9wavefront6targetE1EEEvSR_
	.p2align	8
	.type	_ZN7rocprim17ROCPRIM_400000_NS6detail17trampoline_kernelINS0_14default_configENS1_22reduce_config_selectorI18summary_stats_dataIfEEEZNS1_11reduce_implILb1ES3_N6thrust23THRUST_200600_302600_NS11hip_rocprim26transform_input_iterator_tIS6_NSA_6detail15normal_iteratorINSA_10device_ptrIfEEEE22summary_stats_unary_opIfEEEPS6_S6_23summary_stats_binary_opIfEEE10hipError_tPvRmT1_T2_T3_mT4_P12ihipStream_tbEUlT_E0_NS1_11comp_targetILNS1_3genE5ELNS1_11target_archE942ELNS1_3gpuE9ELNS1_3repE0EEENS1_30default_config_static_selectorELNS0_4arch9wavefront6targetE1EEEvSR_,@function
_ZN7rocprim17ROCPRIM_400000_NS6detail17trampoline_kernelINS0_14default_configENS1_22reduce_config_selectorI18summary_stats_dataIfEEEZNS1_11reduce_implILb1ES3_N6thrust23THRUST_200600_302600_NS11hip_rocprim26transform_input_iterator_tIS6_NSA_6detail15normal_iteratorINSA_10device_ptrIfEEEE22summary_stats_unary_opIfEEEPS6_S6_23summary_stats_binary_opIfEEE10hipError_tPvRmT1_T2_T3_mT4_P12ihipStream_tbEUlT_E0_NS1_11comp_targetILNS1_3genE5ELNS1_11target_archE942ELNS1_3gpuE9ELNS1_3repE0EEENS1_30default_config_static_selectorELNS0_4arch9wavefront6targetE1EEEvSR_: ; @_ZN7rocprim17ROCPRIM_400000_NS6detail17trampoline_kernelINS0_14default_configENS1_22reduce_config_selectorI18summary_stats_dataIfEEEZNS1_11reduce_implILb1ES3_N6thrust23THRUST_200600_302600_NS11hip_rocprim26transform_input_iterator_tIS6_NSA_6detail15normal_iteratorINSA_10device_ptrIfEEEE22summary_stats_unary_opIfEEEPS6_S6_23summary_stats_binary_opIfEEE10hipError_tPvRmT1_T2_T3_mT4_P12ihipStream_tbEUlT_E0_NS1_11comp_targetILNS1_3genE5ELNS1_11target_archE942ELNS1_3gpuE9ELNS1_3repE0EEENS1_30default_config_static_selectorELNS0_4arch9wavefront6targetE1EEEvSR_
; %bb.0:
	.section	.rodata,"a",@progbits
	.p2align	6, 0x0
	.amdhsa_kernel _ZN7rocprim17ROCPRIM_400000_NS6detail17trampoline_kernelINS0_14default_configENS1_22reduce_config_selectorI18summary_stats_dataIfEEEZNS1_11reduce_implILb1ES3_N6thrust23THRUST_200600_302600_NS11hip_rocprim26transform_input_iterator_tIS6_NSA_6detail15normal_iteratorINSA_10device_ptrIfEEEE22summary_stats_unary_opIfEEEPS6_S6_23summary_stats_binary_opIfEEE10hipError_tPvRmT1_T2_T3_mT4_P12ihipStream_tbEUlT_E0_NS1_11comp_targetILNS1_3genE5ELNS1_11target_archE942ELNS1_3gpuE9ELNS1_3repE0EEENS1_30default_config_static_selectorELNS0_4arch9wavefront6targetE1EEEvSR_
		.amdhsa_group_segment_fixed_size 0
		.amdhsa_private_segment_fixed_size 0
		.amdhsa_kernarg_size 88
		.amdhsa_user_sgpr_count 6
		.amdhsa_user_sgpr_private_segment_buffer 1
		.amdhsa_user_sgpr_dispatch_ptr 0
		.amdhsa_user_sgpr_queue_ptr 0
		.amdhsa_user_sgpr_kernarg_segment_ptr 1
		.amdhsa_user_sgpr_dispatch_id 0
		.amdhsa_user_sgpr_flat_scratch_init 0
		.amdhsa_user_sgpr_private_segment_size 0
		.amdhsa_uses_dynamic_stack 0
		.amdhsa_system_sgpr_private_segment_wavefront_offset 0
		.amdhsa_system_sgpr_workgroup_id_x 1
		.amdhsa_system_sgpr_workgroup_id_y 0
		.amdhsa_system_sgpr_workgroup_id_z 0
		.amdhsa_system_sgpr_workgroup_info 0
		.amdhsa_system_vgpr_workitem_id 0
		.amdhsa_next_free_vgpr 1
		.amdhsa_next_free_sgpr 0
		.amdhsa_reserve_vcc 0
		.amdhsa_reserve_flat_scratch 0
		.amdhsa_float_round_mode_32 0
		.amdhsa_float_round_mode_16_64 0
		.amdhsa_float_denorm_mode_32 3
		.amdhsa_float_denorm_mode_16_64 3
		.amdhsa_dx10_clamp 1
		.amdhsa_ieee_mode 1
		.amdhsa_fp16_overflow 0
		.amdhsa_exception_fp_ieee_invalid_op 0
		.amdhsa_exception_fp_denorm_src 0
		.amdhsa_exception_fp_ieee_div_zero 0
		.amdhsa_exception_fp_ieee_overflow 0
		.amdhsa_exception_fp_ieee_underflow 0
		.amdhsa_exception_fp_ieee_inexact 0
		.amdhsa_exception_int_div_zero 0
	.end_amdhsa_kernel
	.section	.text._ZN7rocprim17ROCPRIM_400000_NS6detail17trampoline_kernelINS0_14default_configENS1_22reduce_config_selectorI18summary_stats_dataIfEEEZNS1_11reduce_implILb1ES3_N6thrust23THRUST_200600_302600_NS11hip_rocprim26transform_input_iterator_tIS6_NSA_6detail15normal_iteratorINSA_10device_ptrIfEEEE22summary_stats_unary_opIfEEEPS6_S6_23summary_stats_binary_opIfEEE10hipError_tPvRmT1_T2_T3_mT4_P12ihipStream_tbEUlT_E0_NS1_11comp_targetILNS1_3genE5ELNS1_11target_archE942ELNS1_3gpuE9ELNS1_3repE0EEENS1_30default_config_static_selectorELNS0_4arch9wavefront6targetE1EEEvSR_,"axG",@progbits,_ZN7rocprim17ROCPRIM_400000_NS6detail17trampoline_kernelINS0_14default_configENS1_22reduce_config_selectorI18summary_stats_dataIfEEEZNS1_11reduce_implILb1ES3_N6thrust23THRUST_200600_302600_NS11hip_rocprim26transform_input_iterator_tIS6_NSA_6detail15normal_iteratorINSA_10device_ptrIfEEEE22summary_stats_unary_opIfEEEPS6_S6_23summary_stats_binary_opIfEEE10hipError_tPvRmT1_T2_T3_mT4_P12ihipStream_tbEUlT_E0_NS1_11comp_targetILNS1_3genE5ELNS1_11target_archE942ELNS1_3gpuE9ELNS1_3repE0EEENS1_30default_config_static_selectorELNS0_4arch9wavefront6targetE1EEEvSR_,comdat
.Lfunc_end19:
	.size	_ZN7rocprim17ROCPRIM_400000_NS6detail17trampoline_kernelINS0_14default_configENS1_22reduce_config_selectorI18summary_stats_dataIfEEEZNS1_11reduce_implILb1ES3_N6thrust23THRUST_200600_302600_NS11hip_rocprim26transform_input_iterator_tIS6_NSA_6detail15normal_iteratorINSA_10device_ptrIfEEEE22summary_stats_unary_opIfEEEPS6_S6_23summary_stats_binary_opIfEEE10hipError_tPvRmT1_T2_T3_mT4_P12ihipStream_tbEUlT_E0_NS1_11comp_targetILNS1_3genE5ELNS1_11target_archE942ELNS1_3gpuE9ELNS1_3repE0EEENS1_30default_config_static_selectorELNS0_4arch9wavefront6targetE1EEEvSR_, .Lfunc_end19-_ZN7rocprim17ROCPRIM_400000_NS6detail17trampoline_kernelINS0_14default_configENS1_22reduce_config_selectorI18summary_stats_dataIfEEEZNS1_11reduce_implILb1ES3_N6thrust23THRUST_200600_302600_NS11hip_rocprim26transform_input_iterator_tIS6_NSA_6detail15normal_iteratorINSA_10device_ptrIfEEEE22summary_stats_unary_opIfEEEPS6_S6_23summary_stats_binary_opIfEEE10hipError_tPvRmT1_T2_T3_mT4_P12ihipStream_tbEUlT_E0_NS1_11comp_targetILNS1_3genE5ELNS1_11target_archE942ELNS1_3gpuE9ELNS1_3repE0EEENS1_30default_config_static_selectorELNS0_4arch9wavefront6targetE1EEEvSR_
                                        ; -- End function
	.set _ZN7rocprim17ROCPRIM_400000_NS6detail17trampoline_kernelINS0_14default_configENS1_22reduce_config_selectorI18summary_stats_dataIfEEEZNS1_11reduce_implILb1ES3_N6thrust23THRUST_200600_302600_NS11hip_rocprim26transform_input_iterator_tIS6_NSA_6detail15normal_iteratorINSA_10device_ptrIfEEEE22summary_stats_unary_opIfEEEPS6_S6_23summary_stats_binary_opIfEEE10hipError_tPvRmT1_T2_T3_mT4_P12ihipStream_tbEUlT_E0_NS1_11comp_targetILNS1_3genE5ELNS1_11target_archE942ELNS1_3gpuE9ELNS1_3repE0EEENS1_30default_config_static_selectorELNS0_4arch9wavefront6targetE1EEEvSR_.num_vgpr, 0
	.set _ZN7rocprim17ROCPRIM_400000_NS6detail17trampoline_kernelINS0_14default_configENS1_22reduce_config_selectorI18summary_stats_dataIfEEEZNS1_11reduce_implILb1ES3_N6thrust23THRUST_200600_302600_NS11hip_rocprim26transform_input_iterator_tIS6_NSA_6detail15normal_iteratorINSA_10device_ptrIfEEEE22summary_stats_unary_opIfEEEPS6_S6_23summary_stats_binary_opIfEEE10hipError_tPvRmT1_T2_T3_mT4_P12ihipStream_tbEUlT_E0_NS1_11comp_targetILNS1_3genE5ELNS1_11target_archE942ELNS1_3gpuE9ELNS1_3repE0EEENS1_30default_config_static_selectorELNS0_4arch9wavefront6targetE1EEEvSR_.num_agpr, 0
	.set _ZN7rocprim17ROCPRIM_400000_NS6detail17trampoline_kernelINS0_14default_configENS1_22reduce_config_selectorI18summary_stats_dataIfEEEZNS1_11reduce_implILb1ES3_N6thrust23THRUST_200600_302600_NS11hip_rocprim26transform_input_iterator_tIS6_NSA_6detail15normal_iteratorINSA_10device_ptrIfEEEE22summary_stats_unary_opIfEEEPS6_S6_23summary_stats_binary_opIfEEE10hipError_tPvRmT1_T2_T3_mT4_P12ihipStream_tbEUlT_E0_NS1_11comp_targetILNS1_3genE5ELNS1_11target_archE942ELNS1_3gpuE9ELNS1_3repE0EEENS1_30default_config_static_selectorELNS0_4arch9wavefront6targetE1EEEvSR_.numbered_sgpr, 0
	.set _ZN7rocprim17ROCPRIM_400000_NS6detail17trampoline_kernelINS0_14default_configENS1_22reduce_config_selectorI18summary_stats_dataIfEEEZNS1_11reduce_implILb1ES3_N6thrust23THRUST_200600_302600_NS11hip_rocprim26transform_input_iterator_tIS6_NSA_6detail15normal_iteratorINSA_10device_ptrIfEEEE22summary_stats_unary_opIfEEEPS6_S6_23summary_stats_binary_opIfEEE10hipError_tPvRmT1_T2_T3_mT4_P12ihipStream_tbEUlT_E0_NS1_11comp_targetILNS1_3genE5ELNS1_11target_archE942ELNS1_3gpuE9ELNS1_3repE0EEENS1_30default_config_static_selectorELNS0_4arch9wavefront6targetE1EEEvSR_.num_named_barrier, 0
	.set _ZN7rocprim17ROCPRIM_400000_NS6detail17trampoline_kernelINS0_14default_configENS1_22reduce_config_selectorI18summary_stats_dataIfEEEZNS1_11reduce_implILb1ES3_N6thrust23THRUST_200600_302600_NS11hip_rocprim26transform_input_iterator_tIS6_NSA_6detail15normal_iteratorINSA_10device_ptrIfEEEE22summary_stats_unary_opIfEEEPS6_S6_23summary_stats_binary_opIfEEE10hipError_tPvRmT1_T2_T3_mT4_P12ihipStream_tbEUlT_E0_NS1_11comp_targetILNS1_3genE5ELNS1_11target_archE942ELNS1_3gpuE9ELNS1_3repE0EEENS1_30default_config_static_selectorELNS0_4arch9wavefront6targetE1EEEvSR_.private_seg_size, 0
	.set _ZN7rocprim17ROCPRIM_400000_NS6detail17trampoline_kernelINS0_14default_configENS1_22reduce_config_selectorI18summary_stats_dataIfEEEZNS1_11reduce_implILb1ES3_N6thrust23THRUST_200600_302600_NS11hip_rocprim26transform_input_iterator_tIS6_NSA_6detail15normal_iteratorINSA_10device_ptrIfEEEE22summary_stats_unary_opIfEEEPS6_S6_23summary_stats_binary_opIfEEE10hipError_tPvRmT1_T2_T3_mT4_P12ihipStream_tbEUlT_E0_NS1_11comp_targetILNS1_3genE5ELNS1_11target_archE942ELNS1_3gpuE9ELNS1_3repE0EEENS1_30default_config_static_selectorELNS0_4arch9wavefront6targetE1EEEvSR_.uses_vcc, 0
	.set _ZN7rocprim17ROCPRIM_400000_NS6detail17trampoline_kernelINS0_14default_configENS1_22reduce_config_selectorI18summary_stats_dataIfEEEZNS1_11reduce_implILb1ES3_N6thrust23THRUST_200600_302600_NS11hip_rocprim26transform_input_iterator_tIS6_NSA_6detail15normal_iteratorINSA_10device_ptrIfEEEE22summary_stats_unary_opIfEEEPS6_S6_23summary_stats_binary_opIfEEE10hipError_tPvRmT1_T2_T3_mT4_P12ihipStream_tbEUlT_E0_NS1_11comp_targetILNS1_3genE5ELNS1_11target_archE942ELNS1_3gpuE9ELNS1_3repE0EEENS1_30default_config_static_selectorELNS0_4arch9wavefront6targetE1EEEvSR_.uses_flat_scratch, 0
	.set _ZN7rocprim17ROCPRIM_400000_NS6detail17trampoline_kernelINS0_14default_configENS1_22reduce_config_selectorI18summary_stats_dataIfEEEZNS1_11reduce_implILb1ES3_N6thrust23THRUST_200600_302600_NS11hip_rocprim26transform_input_iterator_tIS6_NSA_6detail15normal_iteratorINSA_10device_ptrIfEEEE22summary_stats_unary_opIfEEEPS6_S6_23summary_stats_binary_opIfEEE10hipError_tPvRmT1_T2_T3_mT4_P12ihipStream_tbEUlT_E0_NS1_11comp_targetILNS1_3genE5ELNS1_11target_archE942ELNS1_3gpuE9ELNS1_3repE0EEENS1_30default_config_static_selectorELNS0_4arch9wavefront6targetE1EEEvSR_.has_dyn_sized_stack, 0
	.set _ZN7rocprim17ROCPRIM_400000_NS6detail17trampoline_kernelINS0_14default_configENS1_22reduce_config_selectorI18summary_stats_dataIfEEEZNS1_11reduce_implILb1ES3_N6thrust23THRUST_200600_302600_NS11hip_rocprim26transform_input_iterator_tIS6_NSA_6detail15normal_iteratorINSA_10device_ptrIfEEEE22summary_stats_unary_opIfEEEPS6_S6_23summary_stats_binary_opIfEEE10hipError_tPvRmT1_T2_T3_mT4_P12ihipStream_tbEUlT_E0_NS1_11comp_targetILNS1_3genE5ELNS1_11target_archE942ELNS1_3gpuE9ELNS1_3repE0EEENS1_30default_config_static_selectorELNS0_4arch9wavefront6targetE1EEEvSR_.has_recursion, 0
	.set _ZN7rocprim17ROCPRIM_400000_NS6detail17trampoline_kernelINS0_14default_configENS1_22reduce_config_selectorI18summary_stats_dataIfEEEZNS1_11reduce_implILb1ES3_N6thrust23THRUST_200600_302600_NS11hip_rocprim26transform_input_iterator_tIS6_NSA_6detail15normal_iteratorINSA_10device_ptrIfEEEE22summary_stats_unary_opIfEEEPS6_S6_23summary_stats_binary_opIfEEE10hipError_tPvRmT1_T2_T3_mT4_P12ihipStream_tbEUlT_E0_NS1_11comp_targetILNS1_3genE5ELNS1_11target_archE942ELNS1_3gpuE9ELNS1_3repE0EEENS1_30default_config_static_selectorELNS0_4arch9wavefront6targetE1EEEvSR_.has_indirect_call, 0
	.section	.AMDGPU.csdata,"",@progbits
; Kernel info:
; codeLenInByte = 0
; TotalNumSgprs: 4
; NumVgprs: 0
; ScratchSize: 0
; MemoryBound: 0
; FloatMode: 240
; IeeeMode: 1
; LDSByteSize: 0 bytes/workgroup (compile time only)
; SGPRBlocks: 0
; VGPRBlocks: 0
; NumSGPRsForWavesPerEU: 4
; NumVGPRsForWavesPerEU: 1
; Occupancy: 10
; WaveLimiterHint : 0
; COMPUTE_PGM_RSRC2:SCRATCH_EN: 0
; COMPUTE_PGM_RSRC2:USER_SGPR: 6
; COMPUTE_PGM_RSRC2:TRAP_HANDLER: 0
; COMPUTE_PGM_RSRC2:TGID_X_EN: 1
; COMPUTE_PGM_RSRC2:TGID_Y_EN: 0
; COMPUTE_PGM_RSRC2:TGID_Z_EN: 0
; COMPUTE_PGM_RSRC2:TIDIG_COMP_CNT: 0
	.section	.text._ZN7rocprim17ROCPRIM_400000_NS6detail17trampoline_kernelINS0_14default_configENS1_22reduce_config_selectorI18summary_stats_dataIfEEEZNS1_11reduce_implILb1ES3_N6thrust23THRUST_200600_302600_NS11hip_rocprim26transform_input_iterator_tIS6_NSA_6detail15normal_iteratorINSA_10device_ptrIfEEEE22summary_stats_unary_opIfEEEPS6_S6_23summary_stats_binary_opIfEEE10hipError_tPvRmT1_T2_T3_mT4_P12ihipStream_tbEUlT_E0_NS1_11comp_targetILNS1_3genE4ELNS1_11target_archE910ELNS1_3gpuE8ELNS1_3repE0EEENS1_30default_config_static_selectorELNS0_4arch9wavefront6targetE1EEEvSR_,"axG",@progbits,_ZN7rocprim17ROCPRIM_400000_NS6detail17trampoline_kernelINS0_14default_configENS1_22reduce_config_selectorI18summary_stats_dataIfEEEZNS1_11reduce_implILb1ES3_N6thrust23THRUST_200600_302600_NS11hip_rocprim26transform_input_iterator_tIS6_NSA_6detail15normal_iteratorINSA_10device_ptrIfEEEE22summary_stats_unary_opIfEEEPS6_S6_23summary_stats_binary_opIfEEE10hipError_tPvRmT1_T2_T3_mT4_P12ihipStream_tbEUlT_E0_NS1_11comp_targetILNS1_3genE4ELNS1_11target_archE910ELNS1_3gpuE8ELNS1_3repE0EEENS1_30default_config_static_selectorELNS0_4arch9wavefront6targetE1EEEvSR_,comdat
	.protected	_ZN7rocprim17ROCPRIM_400000_NS6detail17trampoline_kernelINS0_14default_configENS1_22reduce_config_selectorI18summary_stats_dataIfEEEZNS1_11reduce_implILb1ES3_N6thrust23THRUST_200600_302600_NS11hip_rocprim26transform_input_iterator_tIS6_NSA_6detail15normal_iteratorINSA_10device_ptrIfEEEE22summary_stats_unary_opIfEEEPS6_S6_23summary_stats_binary_opIfEEE10hipError_tPvRmT1_T2_T3_mT4_P12ihipStream_tbEUlT_E0_NS1_11comp_targetILNS1_3genE4ELNS1_11target_archE910ELNS1_3gpuE8ELNS1_3repE0EEENS1_30default_config_static_selectorELNS0_4arch9wavefront6targetE1EEEvSR_ ; -- Begin function _ZN7rocprim17ROCPRIM_400000_NS6detail17trampoline_kernelINS0_14default_configENS1_22reduce_config_selectorI18summary_stats_dataIfEEEZNS1_11reduce_implILb1ES3_N6thrust23THRUST_200600_302600_NS11hip_rocprim26transform_input_iterator_tIS6_NSA_6detail15normal_iteratorINSA_10device_ptrIfEEEE22summary_stats_unary_opIfEEEPS6_S6_23summary_stats_binary_opIfEEE10hipError_tPvRmT1_T2_T3_mT4_P12ihipStream_tbEUlT_E0_NS1_11comp_targetILNS1_3genE4ELNS1_11target_archE910ELNS1_3gpuE8ELNS1_3repE0EEENS1_30default_config_static_selectorELNS0_4arch9wavefront6targetE1EEEvSR_
	.globl	_ZN7rocprim17ROCPRIM_400000_NS6detail17trampoline_kernelINS0_14default_configENS1_22reduce_config_selectorI18summary_stats_dataIfEEEZNS1_11reduce_implILb1ES3_N6thrust23THRUST_200600_302600_NS11hip_rocprim26transform_input_iterator_tIS6_NSA_6detail15normal_iteratorINSA_10device_ptrIfEEEE22summary_stats_unary_opIfEEEPS6_S6_23summary_stats_binary_opIfEEE10hipError_tPvRmT1_T2_T3_mT4_P12ihipStream_tbEUlT_E0_NS1_11comp_targetILNS1_3genE4ELNS1_11target_archE910ELNS1_3gpuE8ELNS1_3repE0EEENS1_30default_config_static_selectorELNS0_4arch9wavefront6targetE1EEEvSR_
	.p2align	8
	.type	_ZN7rocprim17ROCPRIM_400000_NS6detail17trampoline_kernelINS0_14default_configENS1_22reduce_config_selectorI18summary_stats_dataIfEEEZNS1_11reduce_implILb1ES3_N6thrust23THRUST_200600_302600_NS11hip_rocprim26transform_input_iterator_tIS6_NSA_6detail15normal_iteratorINSA_10device_ptrIfEEEE22summary_stats_unary_opIfEEEPS6_S6_23summary_stats_binary_opIfEEE10hipError_tPvRmT1_T2_T3_mT4_P12ihipStream_tbEUlT_E0_NS1_11comp_targetILNS1_3genE4ELNS1_11target_archE910ELNS1_3gpuE8ELNS1_3repE0EEENS1_30default_config_static_selectorELNS0_4arch9wavefront6targetE1EEEvSR_,@function
_ZN7rocprim17ROCPRIM_400000_NS6detail17trampoline_kernelINS0_14default_configENS1_22reduce_config_selectorI18summary_stats_dataIfEEEZNS1_11reduce_implILb1ES3_N6thrust23THRUST_200600_302600_NS11hip_rocprim26transform_input_iterator_tIS6_NSA_6detail15normal_iteratorINSA_10device_ptrIfEEEE22summary_stats_unary_opIfEEEPS6_S6_23summary_stats_binary_opIfEEE10hipError_tPvRmT1_T2_T3_mT4_P12ihipStream_tbEUlT_E0_NS1_11comp_targetILNS1_3genE4ELNS1_11target_archE910ELNS1_3gpuE8ELNS1_3repE0EEENS1_30default_config_static_selectorELNS0_4arch9wavefront6targetE1EEEvSR_: ; @_ZN7rocprim17ROCPRIM_400000_NS6detail17trampoline_kernelINS0_14default_configENS1_22reduce_config_selectorI18summary_stats_dataIfEEEZNS1_11reduce_implILb1ES3_N6thrust23THRUST_200600_302600_NS11hip_rocprim26transform_input_iterator_tIS6_NSA_6detail15normal_iteratorINSA_10device_ptrIfEEEE22summary_stats_unary_opIfEEEPS6_S6_23summary_stats_binary_opIfEEE10hipError_tPvRmT1_T2_T3_mT4_P12ihipStream_tbEUlT_E0_NS1_11comp_targetILNS1_3genE4ELNS1_11target_archE910ELNS1_3gpuE8ELNS1_3repE0EEENS1_30default_config_static_selectorELNS0_4arch9wavefront6targetE1EEEvSR_
; %bb.0:
	.section	.rodata,"a",@progbits
	.p2align	6, 0x0
	.amdhsa_kernel _ZN7rocprim17ROCPRIM_400000_NS6detail17trampoline_kernelINS0_14default_configENS1_22reduce_config_selectorI18summary_stats_dataIfEEEZNS1_11reduce_implILb1ES3_N6thrust23THRUST_200600_302600_NS11hip_rocprim26transform_input_iterator_tIS6_NSA_6detail15normal_iteratorINSA_10device_ptrIfEEEE22summary_stats_unary_opIfEEEPS6_S6_23summary_stats_binary_opIfEEE10hipError_tPvRmT1_T2_T3_mT4_P12ihipStream_tbEUlT_E0_NS1_11comp_targetILNS1_3genE4ELNS1_11target_archE910ELNS1_3gpuE8ELNS1_3repE0EEENS1_30default_config_static_selectorELNS0_4arch9wavefront6targetE1EEEvSR_
		.amdhsa_group_segment_fixed_size 0
		.amdhsa_private_segment_fixed_size 0
		.amdhsa_kernarg_size 88
		.amdhsa_user_sgpr_count 6
		.amdhsa_user_sgpr_private_segment_buffer 1
		.amdhsa_user_sgpr_dispatch_ptr 0
		.amdhsa_user_sgpr_queue_ptr 0
		.amdhsa_user_sgpr_kernarg_segment_ptr 1
		.amdhsa_user_sgpr_dispatch_id 0
		.amdhsa_user_sgpr_flat_scratch_init 0
		.amdhsa_user_sgpr_private_segment_size 0
		.amdhsa_uses_dynamic_stack 0
		.amdhsa_system_sgpr_private_segment_wavefront_offset 0
		.amdhsa_system_sgpr_workgroup_id_x 1
		.amdhsa_system_sgpr_workgroup_id_y 0
		.amdhsa_system_sgpr_workgroup_id_z 0
		.amdhsa_system_sgpr_workgroup_info 0
		.amdhsa_system_vgpr_workitem_id 0
		.amdhsa_next_free_vgpr 1
		.amdhsa_next_free_sgpr 0
		.amdhsa_reserve_vcc 0
		.amdhsa_reserve_flat_scratch 0
		.amdhsa_float_round_mode_32 0
		.amdhsa_float_round_mode_16_64 0
		.amdhsa_float_denorm_mode_32 3
		.amdhsa_float_denorm_mode_16_64 3
		.amdhsa_dx10_clamp 1
		.amdhsa_ieee_mode 1
		.amdhsa_fp16_overflow 0
		.amdhsa_exception_fp_ieee_invalid_op 0
		.amdhsa_exception_fp_denorm_src 0
		.amdhsa_exception_fp_ieee_div_zero 0
		.amdhsa_exception_fp_ieee_overflow 0
		.amdhsa_exception_fp_ieee_underflow 0
		.amdhsa_exception_fp_ieee_inexact 0
		.amdhsa_exception_int_div_zero 0
	.end_amdhsa_kernel
	.section	.text._ZN7rocprim17ROCPRIM_400000_NS6detail17trampoline_kernelINS0_14default_configENS1_22reduce_config_selectorI18summary_stats_dataIfEEEZNS1_11reduce_implILb1ES3_N6thrust23THRUST_200600_302600_NS11hip_rocprim26transform_input_iterator_tIS6_NSA_6detail15normal_iteratorINSA_10device_ptrIfEEEE22summary_stats_unary_opIfEEEPS6_S6_23summary_stats_binary_opIfEEE10hipError_tPvRmT1_T2_T3_mT4_P12ihipStream_tbEUlT_E0_NS1_11comp_targetILNS1_3genE4ELNS1_11target_archE910ELNS1_3gpuE8ELNS1_3repE0EEENS1_30default_config_static_selectorELNS0_4arch9wavefront6targetE1EEEvSR_,"axG",@progbits,_ZN7rocprim17ROCPRIM_400000_NS6detail17trampoline_kernelINS0_14default_configENS1_22reduce_config_selectorI18summary_stats_dataIfEEEZNS1_11reduce_implILb1ES3_N6thrust23THRUST_200600_302600_NS11hip_rocprim26transform_input_iterator_tIS6_NSA_6detail15normal_iteratorINSA_10device_ptrIfEEEE22summary_stats_unary_opIfEEEPS6_S6_23summary_stats_binary_opIfEEE10hipError_tPvRmT1_T2_T3_mT4_P12ihipStream_tbEUlT_E0_NS1_11comp_targetILNS1_3genE4ELNS1_11target_archE910ELNS1_3gpuE8ELNS1_3repE0EEENS1_30default_config_static_selectorELNS0_4arch9wavefront6targetE1EEEvSR_,comdat
.Lfunc_end20:
	.size	_ZN7rocprim17ROCPRIM_400000_NS6detail17trampoline_kernelINS0_14default_configENS1_22reduce_config_selectorI18summary_stats_dataIfEEEZNS1_11reduce_implILb1ES3_N6thrust23THRUST_200600_302600_NS11hip_rocprim26transform_input_iterator_tIS6_NSA_6detail15normal_iteratorINSA_10device_ptrIfEEEE22summary_stats_unary_opIfEEEPS6_S6_23summary_stats_binary_opIfEEE10hipError_tPvRmT1_T2_T3_mT4_P12ihipStream_tbEUlT_E0_NS1_11comp_targetILNS1_3genE4ELNS1_11target_archE910ELNS1_3gpuE8ELNS1_3repE0EEENS1_30default_config_static_selectorELNS0_4arch9wavefront6targetE1EEEvSR_, .Lfunc_end20-_ZN7rocprim17ROCPRIM_400000_NS6detail17trampoline_kernelINS0_14default_configENS1_22reduce_config_selectorI18summary_stats_dataIfEEEZNS1_11reduce_implILb1ES3_N6thrust23THRUST_200600_302600_NS11hip_rocprim26transform_input_iterator_tIS6_NSA_6detail15normal_iteratorINSA_10device_ptrIfEEEE22summary_stats_unary_opIfEEEPS6_S6_23summary_stats_binary_opIfEEE10hipError_tPvRmT1_T2_T3_mT4_P12ihipStream_tbEUlT_E0_NS1_11comp_targetILNS1_3genE4ELNS1_11target_archE910ELNS1_3gpuE8ELNS1_3repE0EEENS1_30default_config_static_selectorELNS0_4arch9wavefront6targetE1EEEvSR_
                                        ; -- End function
	.set _ZN7rocprim17ROCPRIM_400000_NS6detail17trampoline_kernelINS0_14default_configENS1_22reduce_config_selectorI18summary_stats_dataIfEEEZNS1_11reduce_implILb1ES3_N6thrust23THRUST_200600_302600_NS11hip_rocprim26transform_input_iterator_tIS6_NSA_6detail15normal_iteratorINSA_10device_ptrIfEEEE22summary_stats_unary_opIfEEEPS6_S6_23summary_stats_binary_opIfEEE10hipError_tPvRmT1_T2_T3_mT4_P12ihipStream_tbEUlT_E0_NS1_11comp_targetILNS1_3genE4ELNS1_11target_archE910ELNS1_3gpuE8ELNS1_3repE0EEENS1_30default_config_static_selectorELNS0_4arch9wavefront6targetE1EEEvSR_.num_vgpr, 0
	.set _ZN7rocprim17ROCPRIM_400000_NS6detail17trampoline_kernelINS0_14default_configENS1_22reduce_config_selectorI18summary_stats_dataIfEEEZNS1_11reduce_implILb1ES3_N6thrust23THRUST_200600_302600_NS11hip_rocprim26transform_input_iterator_tIS6_NSA_6detail15normal_iteratorINSA_10device_ptrIfEEEE22summary_stats_unary_opIfEEEPS6_S6_23summary_stats_binary_opIfEEE10hipError_tPvRmT1_T2_T3_mT4_P12ihipStream_tbEUlT_E0_NS1_11comp_targetILNS1_3genE4ELNS1_11target_archE910ELNS1_3gpuE8ELNS1_3repE0EEENS1_30default_config_static_selectorELNS0_4arch9wavefront6targetE1EEEvSR_.num_agpr, 0
	.set _ZN7rocprim17ROCPRIM_400000_NS6detail17trampoline_kernelINS0_14default_configENS1_22reduce_config_selectorI18summary_stats_dataIfEEEZNS1_11reduce_implILb1ES3_N6thrust23THRUST_200600_302600_NS11hip_rocprim26transform_input_iterator_tIS6_NSA_6detail15normal_iteratorINSA_10device_ptrIfEEEE22summary_stats_unary_opIfEEEPS6_S6_23summary_stats_binary_opIfEEE10hipError_tPvRmT1_T2_T3_mT4_P12ihipStream_tbEUlT_E0_NS1_11comp_targetILNS1_3genE4ELNS1_11target_archE910ELNS1_3gpuE8ELNS1_3repE0EEENS1_30default_config_static_selectorELNS0_4arch9wavefront6targetE1EEEvSR_.numbered_sgpr, 0
	.set _ZN7rocprim17ROCPRIM_400000_NS6detail17trampoline_kernelINS0_14default_configENS1_22reduce_config_selectorI18summary_stats_dataIfEEEZNS1_11reduce_implILb1ES3_N6thrust23THRUST_200600_302600_NS11hip_rocprim26transform_input_iterator_tIS6_NSA_6detail15normal_iteratorINSA_10device_ptrIfEEEE22summary_stats_unary_opIfEEEPS6_S6_23summary_stats_binary_opIfEEE10hipError_tPvRmT1_T2_T3_mT4_P12ihipStream_tbEUlT_E0_NS1_11comp_targetILNS1_3genE4ELNS1_11target_archE910ELNS1_3gpuE8ELNS1_3repE0EEENS1_30default_config_static_selectorELNS0_4arch9wavefront6targetE1EEEvSR_.num_named_barrier, 0
	.set _ZN7rocprim17ROCPRIM_400000_NS6detail17trampoline_kernelINS0_14default_configENS1_22reduce_config_selectorI18summary_stats_dataIfEEEZNS1_11reduce_implILb1ES3_N6thrust23THRUST_200600_302600_NS11hip_rocprim26transform_input_iterator_tIS6_NSA_6detail15normal_iteratorINSA_10device_ptrIfEEEE22summary_stats_unary_opIfEEEPS6_S6_23summary_stats_binary_opIfEEE10hipError_tPvRmT1_T2_T3_mT4_P12ihipStream_tbEUlT_E0_NS1_11comp_targetILNS1_3genE4ELNS1_11target_archE910ELNS1_3gpuE8ELNS1_3repE0EEENS1_30default_config_static_selectorELNS0_4arch9wavefront6targetE1EEEvSR_.private_seg_size, 0
	.set _ZN7rocprim17ROCPRIM_400000_NS6detail17trampoline_kernelINS0_14default_configENS1_22reduce_config_selectorI18summary_stats_dataIfEEEZNS1_11reduce_implILb1ES3_N6thrust23THRUST_200600_302600_NS11hip_rocprim26transform_input_iterator_tIS6_NSA_6detail15normal_iteratorINSA_10device_ptrIfEEEE22summary_stats_unary_opIfEEEPS6_S6_23summary_stats_binary_opIfEEE10hipError_tPvRmT1_T2_T3_mT4_P12ihipStream_tbEUlT_E0_NS1_11comp_targetILNS1_3genE4ELNS1_11target_archE910ELNS1_3gpuE8ELNS1_3repE0EEENS1_30default_config_static_selectorELNS0_4arch9wavefront6targetE1EEEvSR_.uses_vcc, 0
	.set _ZN7rocprim17ROCPRIM_400000_NS6detail17trampoline_kernelINS0_14default_configENS1_22reduce_config_selectorI18summary_stats_dataIfEEEZNS1_11reduce_implILb1ES3_N6thrust23THRUST_200600_302600_NS11hip_rocprim26transform_input_iterator_tIS6_NSA_6detail15normal_iteratorINSA_10device_ptrIfEEEE22summary_stats_unary_opIfEEEPS6_S6_23summary_stats_binary_opIfEEE10hipError_tPvRmT1_T2_T3_mT4_P12ihipStream_tbEUlT_E0_NS1_11comp_targetILNS1_3genE4ELNS1_11target_archE910ELNS1_3gpuE8ELNS1_3repE0EEENS1_30default_config_static_selectorELNS0_4arch9wavefront6targetE1EEEvSR_.uses_flat_scratch, 0
	.set _ZN7rocprim17ROCPRIM_400000_NS6detail17trampoline_kernelINS0_14default_configENS1_22reduce_config_selectorI18summary_stats_dataIfEEEZNS1_11reduce_implILb1ES3_N6thrust23THRUST_200600_302600_NS11hip_rocprim26transform_input_iterator_tIS6_NSA_6detail15normal_iteratorINSA_10device_ptrIfEEEE22summary_stats_unary_opIfEEEPS6_S6_23summary_stats_binary_opIfEEE10hipError_tPvRmT1_T2_T3_mT4_P12ihipStream_tbEUlT_E0_NS1_11comp_targetILNS1_3genE4ELNS1_11target_archE910ELNS1_3gpuE8ELNS1_3repE0EEENS1_30default_config_static_selectorELNS0_4arch9wavefront6targetE1EEEvSR_.has_dyn_sized_stack, 0
	.set _ZN7rocprim17ROCPRIM_400000_NS6detail17trampoline_kernelINS0_14default_configENS1_22reduce_config_selectorI18summary_stats_dataIfEEEZNS1_11reduce_implILb1ES3_N6thrust23THRUST_200600_302600_NS11hip_rocprim26transform_input_iterator_tIS6_NSA_6detail15normal_iteratorINSA_10device_ptrIfEEEE22summary_stats_unary_opIfEEEPS6_S6_23summary_stats_binary_opIfEEE10hipError_tPvRmT1_T2_T3_mT4_P12ihipStream_tbEUlT_E0_NS1_11comp_targetILNS1_3genE4ELNS1_11target_archE910ELNS1_3gpuE8ELNS1_3repE0EEENS1_30default_config_static_selectorELNS0_4arch9wavefront6targetE1EEEvSR_.has_recursion, 0
	.set _ZN7rocprim17ROCPRIM_400000_NS6detail17trampoline_kernelINS0_14default_configENS1_22reduce_config_selectorI18summary_stats_dataIfEEEZNS1_11reduce_implILb1ES3_N6thrust23THRUST_200600_302600_NS11hip_rocprim26transform_input_iterator_tIS6_NSA_6detail15normal_iteratorINSA_10device_ptrIfEEEE22summary_stats_unary_opIfEEEPS6_S6_23summary_stats_binary_opIfEEE10hipError_tPvRmT1_T2_T3_mT4_P12ihipStream_tbEUlT_E0_NS1_11comp_targetILNS1_3genE4ELNS1_11target_archE910ELNS1_3gpuE8ELNS1_3repE0EEENS1_30default_config_static_selectorELNS0_4arch9wavefront6targetE1EEEvSR_.has_indirect_call, 0
	.section	.AMDGPU.csdata,"",@progbits
; Kernel info:
; codeLenInByte = 0
; TotalNumSgprs: 4
; NumVgprs: 0
; ScratchSize: 0
; MemoryBound: 0
; FloatMode: 240
; IeeeMode: 1
; LDSByteSize: 0 bytes/workgroup (compile time only)
; SGPRBlocks: 0
; VGPRBlocks: 0
; NumSGPRsForWavesPerEU: 4
; NumVGPRsForWavesPerEU: 1
; Occupancy: 10
; WaveLimiterHint : 0
; COMPUTE_PGM_RSRC2:SCRATCH_EN: 0
; COMPUTE_PGM_RSRC2:USER_SGPR: 6
; COMPUTE_PGM_RSRC2:TRAP_HANDLER: 0
; COMPUTE_PGM_RSRC2:TGID_X_EN: 1
; COMPUTE_PGM_RSRC2:TGID_Y_EN: 0
; COMPUTE_PGM_RSRC2:TGID_Z_EN: 0
; COMPUTE_PGM_RSRC2:TIDIG_COMP_CNT: 0
	.section	.text._ZN7rocprim17ROCPRIM_400000_NS6detail17trampoline_kernelINS0_14default_configENS1_22reduce_config_selectorI18summary_stats_dataIfEEEZNS1_11reduce_implILb1ES3_N6thrust23THRUST_200600_302600_NS11hip_rocprim26transform_input_iterator_tIS6_NSA_6detail15normal_iteratorINSA_10device_ptrIfEEEE22summary_stats_unary_opIfEEEPS6_S6_23summary_stats_binary_opIfEEE10hipError_tPvRmT1_T2_T3_mT4_P12ihipStream_tbEUlT_E0_NS1_11comp_targetILNS1_3genE3ELNS1_11target_archE908ELNS1_3gpuE7ELNS1_3repE0EEENS1_30default_config_static_selectorELNS0_4arch9wavefront6targetE1EEEvSR_,"axG",@progbits,_ZN7rocprim17ROCPRIM_400000_NS6detail17trampoline_kernelINS0_14default_configENS1_22reduce_config_selectorI18summary_stats_dataIfEEEZNS1_11reduce_implILb1ES3_N6thrust23THRUST_200600_302600_NS11hip_rocprim26transform_input_iterator_tIS6_NSA_6detail15normal_iteratorINSA_10device_ptrIfEEEE22summary_stats_unary_opIfEEEPS6_S6_23summary_stats_binary_opIfEEE10hipError_tPvRmT1_T2_T3_mT4_P12ihipStream_tbEUlT_E0_NS1_11comp_targetILNS1_3genE3ELNS1_11target_archE908ELNS1_3gpuE7ELNS1_3repE0EEENS1_30default_config_static_selectorELNS0_4arch9wavefront6targetE1EEEvSR_,comdat
	.protected	_ZN7rocprim17ROCPRIM_400000_NS6detail17trampoline_kernelINS0_14default_configENS1_22reduce_config_selectorI18summary_stats_dataIfEEEZNS1_11reduce_implILb1ES3_N6thrust23THRUST_200600_302600_NS11hip_rocprim26transform_input_iterator_tIS6_NSA_6detail15normal_iteratorINSA_10device_ptrIfEEEE22summary_stats_unary_opIfEEEPS6_S6_23summary_stats_binary_opIfEEE10hipError_tPvRmT1_T2_T3_mT4_P12ihipStream_tbEUlT_E0_NS1_11comp_targetILNS1_3genE3ELNS1_11target_archE908ELNS1_3gpuE7ELNS1_3repE0EEENS1_30default_config_static_selectorELNS0_4arch9wavefront6targetE1EEEvSR_ ; -- Begin function _ZN7rocprim17ROCPRIM_400000_NS6detail17trampoline_kernelINS0_14default_configENS1_22reduce_config_selectorI18summary_stats_dataIfEEEZNS1_11reduce_implILb1ES3_N6thrust23THRUST_200600_302600_NS11hip_rocprim26transform_input_iterator_tIS6_NSA_6detail15normal_iteratorINSA_10device_ptrIfEEEE22summary_stats_unary_opIfEEEPS6_S6_23summary_stats_binary_opIfEEE10hipError_tPvRmT1_T2_T3_mT4_P12ihipStream_tbEUlT_E0_NS1_11comp_targetILNS1_3genE3ELNS1_11target_archE908ELNS1_3gpuE7ELNS1_3repE0EEENS1_30default_config_static_selectorELNS0_4arch9wavefront6targetE1EEEvSR_
	.globl	_ZN7rocprim17ROCPRIM_400000_NS6detail17trampoline_kernelINS0_14default_configENS1_22reduce_config_selectorI18summary_stats_dataIfEEEZNS1_11reduce_implILb1ES3_N6thrust23THRUST_200600_302600_NS11hip_rocprim26transform_input_iterator_tIS6_NSA_6detail15normal_iteratorINSA_10device_ptrIfEEEE22summary_stats_unary_opIfEEEPS6_S6_23summary_stats_binary_opIfEEE10hipError_tPvRmT1_T2_T3_mT4_P12ihipStream_tbEUlT_E0_NS1_11comp_targetILNS1_3genE3ELNS1_11target_archE908ELNS1_3gpuE7ELNS1_3repE0EEENS1_30default_config_static_selectorELNS0_4arch9wavefront6targetE1EEEvSR_
	.p2align	8
	.type	_ZN7rocprim17ROCPRIM_400000_NS6detail17trampoline_kernelINS0_14default_configENS1_22reduce_config_selectorI18summary_stats_dataIfEEEZNS1_11reduce_implILb1ES3_N6thrust23THRUST_200600_302600_NS11hip_rocprim26transform_input_iterator_tIS6_NSA_6detail15normal_iteratorINSA_10device_ptrIfEEEE22summary_stats_unary_opIfEEEPS6_S6_23summary_stats_binary_opIfEEE10hipError_tPvRmT1_T2_T3_mT4_P12ihipStream_tbEUlT_E0_NS1_11comp_targetILNS1_3genE3ELNS1_11target_archE908ELNS1_3gpuE7ELNS1_3repE0EEENS1_30default_config_static_selectorELNS0_4arch9wavefront6targetE1EEEvSR_,@function
_ZN7rocprim17ROCPRIM_400000_NS6detail17trampoline_kernelINS0_14default_configENS1_22reduce_config_selectorI18summary_stats_dataIfEEEZNS1_11reduce_implILb1ES3_N6thrust23THRUST_200600_302600_NS11hip_rocprim26transform_input_iterator_tIS6_NSA_6detail15normal_iteratorINSA_10device_ptrIfEEEE22summary_stats_unary_opIfEEEPS6_S6_23summary_stats_binary_opIfEEE10hipError_tPvRmT1_T2_T3_mT4_P12ihipStream_tbEUlT_E0_NS1_11comp_targetILNS1_3genE3ELNS1_11target_archE908ELNS1_3gpuE7ELNS1_3repE0EEENS1_30default_config_static_selectorELNS0_4arch9wavefront6targetE1EEEvSR_: ; @_ZN7rocprim17ROCPRIM_400000_NS6detail17trampoline_kernelINS0_14default_configENS1_22reduce_config_selectorI18summary_stats_dataIfEEEZNS1_11reduce_implILb1ES3_N6thrust23THRUST_200600_302600_NS11hip_rocprim26transform_input_iterator_tIS6_NSA_6detail15normal_iteratorINSA_10device_ptrIfEEEE22summary_stats_unary_opIfEEEPS6_S6_23summary_stats_binary_opIfEEE10hipError_tPvRmT1_T2_T3_mT4_P12ihipStream_tbEUlT_E0_NS1_11comp_targetILNS1_3genE3ELNS1_11target_archE908ELNS1_3gpuE7ELNS1_3repE0EEENS1_30default_config_static_selectorELNS0_4arch9wavefront6targetE1EEEvSR_
; %bb.0:
	.section	.rodata,"a",@progbits
	.p2align	6, 0x0
	.amdhsa_kernel _ZN7rocprim17ROCPRIM_400000_NS6detail17trampoline_kernelINS0_14default_configENS1_22reduce_config_selectorI18summary_stats_dataIfEEEZNS1_11reduce_implILb1ES3_N6thrust23THRUST_200600_302600_NS11hip_rocprim26transform_input_iterator_tIS6_NSA_6detail15normal_iteratorINSA_10device_ptrIfEEEE22summary_stats_unary_opIfEEEPS6_S6_23summary_stats_binary_opIfEEE10hipError_tPvRmT1_T2_T3_mT4_P12ihipStream_tbEUlT_E0_NS1_11comp_targetILNS1_3genE3ELNS1_11target_archE908ELNS1_3gpuE7ELNS1_3repE0EEENS1_30default_config_static_selectorELNS0_4arch9wavefront6targetE1EEEvSR_
		.amdhsa_group_segment_fixed_size 0
		.amdhsa_private_segment_fixed_size 0
		.amdhsa_kernarg_size 88
		.amdhsa_user_sgpr_count 6
		.amdhsa_user_sgpr_private_segment_buffer 1
		.amdhsa_user_sgpr_dispatch_ptr 0
		.amdhsa_user_sgpr_queue_ptr 0
		.amdhsa_user_sgpr_kernarg_segment_ptr 1
		.amdhsa_user_sgpr_dispatch_id 0
		.amdhsa_user_sgpr_flat_scratch_init 0
		.amdhsa_user_sgpr_private_segment_size 0
		.amdhsa_uses_dynamic_stack 0
		.amdhsa_system_sgpr_private_segment_wavefront_offset 0
		.amdhsa_system_sgpr_workgroup_id_x 1
		.amdhsa_system_sgpr_workgroup_id_y 0
		.amdhsa_system_sgpr_workgroup_id_z 0
		.amdhsa_system_sgpr_workgroup_info 0
		.amdhsa_system_vgpr_workitem_id 0
		.amdhsa_next_free_vgpr 1
		.amdhsa_next_free_sgpr 0
		.amdhsa_reserve_vcc 0
		.amdhsa_reserve_flat_scratch 0
		.amdhsa_float_round_mode_32 0
		.amdhsa_float_round_mode_16_64 0
		.amdhsa_float_denorm_mode_32 3
		.amdhsa_float_denorm_mode_16_64 3
		.amdhsa_dx10_clamp 1
		.amdhsa_ieee_mode 1
		.amdhsa_fp16_overflow 0
		.amdhsa_exception_fp_ieee_invalid_op 0
		.amdhsa_exception_fp_denorm_src 0
		.amdhsa_exception_fp_ieee_div_zero 0
		.amdhsa_exception_fp_ieee_overflow 0
		.amdhsa_exception_fp_ieee_underflow 0
		.amdhsa_exception_fp_ieee_inexact 0
		.amdhsa_exception_int_div_zero 0
	.end_amdhsa_kernel
	.section	.text._ZN7rocprim17ROCPRIM_400000_NS6detail17trampoline_kernelINS0_14default_configENS1_22reduce_config_selectorI18summary_stats_dataIfEEEZNS1_11reduce_implILb1ES3_N6thrust23THRUST_200600_302600_NS11hip_rocprim26transform_input_iterator_tIS6_NSA_6detail15normal_iteratorINSA_10device_ptrIfEEEE22summary_stats_unary_opIfEEEPS6_S6_23summary_stats_binary_opIfEEE10hipError_tPvRmT1_T2_T3_mT4_P12ihipStream_tbEUlT_E0_NS1_11comp_targetILNS1_3genE3ELNS1_11target_archE908ELNS1_3gpuE7ELNS1_3repE0EEENS1_30default_config_static_selectorELNS0_4arch9wavefront6targetE1EEEvSR_,"axG",@progbits,_ZN7rocprim17ROCPRIM_400000_NS6detail17trampoline_kernelINS0_14default_configENS1_22reduce_config_selectorI18summary_stats_dataIfEEEZNS1_11reduce_implILb1ES3_N6thrust23THRUST_200600_302600_NS11hip_rocprim26transform_input_iterator_tIS6_NSA_6detail15normal_iteratorINSA_10device_ptrIfEEEE22summary_stats_unary_opIfEEEPS6_S6_23summary_stats_binary_opIfEEE10hipError_tPvRmT1_T2_T3_mT4_P12ihipStream_tbEUlT_E0_NS1_11comp_targetILNS1_3genE3ELNS1_11target_archE908ELNS1_3gpuE7ELNS1_3repE0EEENS1_30default_config_static_selectorELNS0_4arch9wavefront6targetE1EEEvSR_,comdat
.Lfunc_end21:
	.size	_ZN7rocprim17ROCPRIM_400000_NS6detail17trampoline_kernelINS0_14default_configENS1_22reduce_config_selectorI18summary_stats_dataIfEEEZNS1_11reduce_implILb1ES3_N6thrust23THRUST_200600_302600_NS11hip_rocprim26transform_input_iterator_tIS6_NSA_6detail15normal_iteratorINSA_10device_ptrIfEEEE22summary_stats_unary_opIfEEEPS6_S6_23summary_stats_binary_opIfEEE10hipError_tPvRmT1_T2_T3_mT4_P12ihipStream_tbEUlT_E0_NS1_11comp_targetILNS1_3genE3ELNS1_11target_archE908ELNS1_3gpuE7ELNS1_3repE0EEENS1_30default_config_static_selectorELNS0_4arch9wavefront6targetE1EEEvSR_, .Lfunc_end21-_ZN7rocprim17ROCPRIM_400000_NS6detail17trampoline_kernelINS0_14default_configENS1_22reduce_config_selectorI18summary_stats_dataIfEEEZNS1_11reduce_implILb1ES3_N6thrust23THRUST_200600_302600_NS11hip_rocprim26transform_input_iterator_tIS6_NSA_6detail15normal_iteratorINSA_10device_ptrIfEEEE22summary_stats_unary_opIfEEEPS6_S6_23summary_stats_binary_opIfEEE10hipError_tPvRmT1_T2_T3_mT4_P12ihipStream_tbEUlT_E0_NS1_11comp_targetILNS1_3genE3ELNS1_11target_archE908ELNS1_3gpuE7ELNS1_3repE0EEENS1_30default_config_static_selectorELNS0_4arch9wavefront6targetE1EEEvSR_
                                        ; -- End function
	.set _ZN7rocprim17ROCPRIM_400000_NS6detail17trampoline_kernelINS0_14default_configENS1_22reduce_config_selectorI18summary_stats_dataIfEEEZNS1_11reduce_implILb1ES3_N6thrust23THRUST_200600_302600_NS11hip_rocprim26transform_input_iterator_tIS6_NSA_6detail15normal_iteratorINSA_10device_ptrIfEEEE22summary_stats_unary_opIfEEEPS6_S6_23summary_stats_binary_opIfEEE10hipError_tPvRmT1_T2_T3_mT4_P12ihipStream_tbEUlT_E0_NS1_11comp_targetILNS1_3genE3ELNS1_11target_archE908ELNS1_3gpuE7ELNS1_3repE0EEENS1_30default_config_static_selectorELNS0_4arch9wavefront6targetE1EEEvSR_.num_vgpr, 0
	.set _ZN7rocprim17ROCPRIM_400000_NS6detail17trampoline_kernelINS0_14default_configENS1_22reduce_config_selectorI18summary_stats_dataIfEEEZNS1_11reduce_implILb1ES3_N6thrust23THRUST_200600_302600_NS11hip_rocprim26transform_input_iterator_tIS6_NSA_6detail15normal_iteratorINSA_10device_ptrIfEEEE22summary_stats_unary_opIfEEEPS6_S6_23summary_stats_binary_opIfEEE10hipError_tPvRmT1_T2_T3_mT4_P12ihipStream_tbEUlT_E0_NS1_11comp_targetILNS1_3genE3ELNS1_11target_archE908ELNS1_3gpuE7ELNS1_3repE0EEENS1_30default_config_static_selectorELNS0_4arch9wavefront6targetE1EEEvSR_.num_agpr, 0
	.set _ZN7rocprim17ROCPRIM_400000_NS6detail17trampoline_kernelINS0_14default_configENS1_22reduce_config_selectorI18summary_stats_dataIfEEEZNS1_11reduce_implILb1ES3_N6thrust23THRUST_200600_302600_NS11hip_rocprim26transform_input_iterator_tIS6_NSA_6detail15normal_iteratorINSA_10device_ptrIfEEEE22summary_stats_unary_opIfEEEPS6_S6_23summary_stats_binary_opIfEEE10hipError_tPvRmT1_T2_T3_mT4_P12ihipStream_tbEUlT_E0_NS1_11comp_targetILNS1_3genE3ELNS1_11target_archE908ELNS1_3gpuE7ELNS1_3repE0EEENS1_30default_config_static_selectorELNS0_4arch9wavefront6targetE1EEEvSR_.numbered_sgpr, 0
	.set _ZN7rocprim17ROCPRIM_400000_NS6detail17trampoline_kernelINS0_14default_configENS1_22reduce_config_selectorI18summary_stats_dataIfEEEZNS1_11reduce_implILb1ES3_N6thrust23THRUST_200600_302600_NS11hip_rocprim26transform_input_iterator_tIS6_NSA_6detail15normal_iteratorINSA_10device_ptrIfEEEE22summary_stats_unary_opIfEEEPS6_S6_23summary_stats_binary_opIfEEE10hipError_tPvRmT1_T2_T3_mT4_P12ihipStream_tbEUlT_E0_NS1_11comp_targetILNS1_3genE3ELNS1_11target_archE908ELNS1_3gpuE7ELNS1_3repE0EEENS1_30default_config_static_selectorELNS0_4arch9wavefront6targetE1EEEvSR_.num_named_barrier, 0
	.set _ZN7rocprim17ROCPRIM_400000_NS6detail17trampoline_kernelINS0_14default_configENS1_22reduce_config_selectorI18summary_stats_dataIfEEEZNS1_11reduce_implILb1ES3_N6thrust23THRUST_200600_302600_NS11hip_rocprim26transform_input_iterator_tIS6_NSA_6detail15normal_iteratorINSA_10device_ptrIfEEEE22summary_stats_unary_opIfEEEPS6_S6_23summary_stats_binary_opIfEEE10hipError_tPvRmT1_T2_T3_mT4_P12ihipStream_tbEUlT_E0_NS1_11comp_targetILNS1_3genE3ELNS1_11target_archE908ELNS1_3gpuE7ELNS1_3repE0EEENS1_30default_config_static_selectorELNS0_4arch9wavefront6targetE1EEEvSR_.private_seg_size, 0
	.set _ZN7rocprim17ROCPRIM_400000_NS6detail17trampoline_kernelINS0_14default_configENS1_22reduce_config_selectorI18summary_stats_dataIfEEEZNS1_11reduce_implILb1ES3_N6thrust23THRUST_200600_302600_NS11hip_rocprim26transform_input_iterator_tIS6_NSA_6detail15normal_iteratorINSA_10device_ptrIfEEEE22summary_stats_unary_opIfEEEPS6_S6_23summary_stats_binary_opIfEEE10hipError_tPvRmT1_T2_T3_mT4_P12ihipStream_tbEUlT_E0_NS1_11comp_targetILNS1_3genE3ELNS1_11target_archE908ELNS1_3gpuE7ELNS1_3repE0EEENS1_30default_config_static_selectorELNS0_4arch9wavefront6targetE1EEEvSR_.uses_vcc, 0
	.set _ZN7rocprim17ROCPRIM_400000_NS6detail17trampoline_kernelINS0_14default_configENS1_22reduce_config_selectorI18summary_stats_dataIfEEEZNS1_11reduce_implILb1ES3_N6thrust23THRUST_200600_302600_NS11hip_rocprim26transform_input_iterator_tIS6_NSA_6detail15normal_iteratorINSA_10device_ptrIfEEEE22summary_stats_unary_opIfEEEPS6_S6_23summary_stats_binary_opIfEEE10hipError_tPvRmT1_T2_T3_mT4_P12ihipStream_tbEUlT_E0_NS1_11comp_targetILNS1_3genE3ELNS1_11target_archE908ELNS1_3gpuE7ELNS1_3repE0EEENS1_30default_config_static_selectorELNS0_4arch9wavefront6targetE1EEEvSR_.uses_flat_scratch, 0
	.set _ZN7rocprim17ROCPRIM_400000_NS6detail17trampoline_kernelINS0_14default_configENS1_22reduce_config_selectorI18summary_stats_dataIfEEEZNS1_11reduce_implILb1ES3_N6thrust23THRUST_200600_302600_NS11hip_rocprim26transform_input_iterator_tIS6_NSA_6detail15normal_iteratorINSA_10device_ptrIfEEEE22summary_stats_unary_opIfEEEPS6_S6_23summary_stats_binary_opIfEEE10hipError_tPvRmT1_T2_T3_mT4_P12ihipStream_tbEUlT_E0_NS1_11comp_targetILNS1_3genE3ELNS1_11target_archE908ELNS1_3gpuE7ELNS1_3repE0EEENS1_30default_config_static_selectorELNS0_4arch9wavefront6targetE1EEEvSR_.has_dyn_sized_stack, 0
	.set _ZN7rocprim17ROCPRIM_400000_NS6detail17trampoline_kernelINS0_14default_configENS1_22reduce_config_selectorI18summary_stats_dataIfEEEZNS1_11reduce_implILb1ES3_N6thrust23THRUST_200600_302600_NS11hip_rocprim26transform_input_iterator_tIS6_NSA_6detail15normal_iteratorINSA_10device_ptrIfEEEE22summary_stats_unary_opIfEEEPS6_S6_23summary_stats_binary_opIfEEE10hipError_tPvRmT1_T2_T3_mT4_P12ihipStream_tbEUlT_E0_NS1_11comp_targetILNS1_3genE3ELNS1_11target_archE908ELNS1_3gpuE7ELNS1_3repE0EEENS1_30default_config_static_selectorELNS0_4arch9wavefront6targetE1EEEvSR_.has_recursion, 0
	.set _ZN7rocprim17ROCPRIM_400000_NS6detail17trampoline_kernelINS0_14default_configENS1_22reduce_config_selectorI18summary_stats_dataIfEEEZNS1_11reduce_implILb1ES3_N6thrust23THRUST_200600_302600_NS11hip_rocprim26transform_input_iterator_tIS6_NSA_6detail15normal_iteratorINSA_10device_ptrIfEEEE22summary_stats_unary_opIfEEEPS6_S6_23summary_stats_binary_opIfEEE10hipError_tPvRmT1_T2_T3_mT4_P12ihipStream_tbEUlT_E0_NS1_11comp_targetILNS1_3genE3ELNS1_11target_archE908ELNS1_3gpuE7ELNS1_3repE0EEENS1_30default_config_static_selectorELNS0_4arch9wavefront6targetE1EEEvSR_.has_indirect_call, 0
	.section	.AMDGPU.csdata,"",@progbits
; Kernel info:
; codeLenInByte = 0
; TotalNumSgprs: 4
; NumVgprs: 0
; ScratchSize: 0
; MemoryBound: 0
; FloatMode: 240
; IeeeMode: 1
; LDSByteSize: 0 bytes/workgroup (compile time only)
; SGPRBlocks: 0
; VGPRBlocks: 0
; NumSGPRsForWavesPerEU: 4
; NumVGPRsForWavesPerEU: 1
; Occupancy: 10
; WaveLimiterHint : 0
; COMPUTE_PGM_RSRC2:SCRATCH_EN: 0
; COMPUTE_PGM_RSRC2:USER_SGPR: 6
; COMPUTE_PGM_RSRC2:TRAP_HANDLER: 0
; COMPUTE_PGM_RSRC2:TGID_X_EN: 1
; COMPUTE_PGM_RSRC2:TGID_Y_EN: 0
; COMPUTE_PGM_RSRC2:TGID_Z_EN: 0
; COMPUTE_PGM_RSRC2:TIDIG_COMP_CNT: 0
	.section	.text._ZN7rocprim17ROCPRIM_400000_NS6detail17trampoline_kernelINS0_14default_configENS1_22reduce_config_selectorI18summary_stats_dataIfEEEZNS1_11reduce_implILb1ES3_N6thrust23THRUST_200600_302600_NS11hip_rocprim26transform_input_iterator_tIS6_NSA_6detail15normal_iteratorINSA_10device_ptrIfEEEE22summary_stats_unary_opIfEEEPS6_S6_23summary_stats_binary_opIfEEE10hipError_tPvRmT1_T2_T3_mT4_P12ihipStream_tbEUlT_E0_NS1_11comp_targetILNS1_3genE2ELNS1_11target_archE906ELNS1_3gpuE6ELNS1_3repE0EEENS1_30default_config_static_selectorELNS0_4arch9wavefront6targetE1EEEvSR_,"axG",@progbits,_ZN7rocprim17ROCPRIM_400000_NS6detail17trampoline_kernelINS0_14default_configENS1_22reduce_config_selectorI18summary_stats_dataIfEEEZNS1_11reduce_implILb1ES3_N6thrust23THRUST_200600_302600_NS11hip_rocprim26transform_input_iterator_tIS6_NSA_6detail15normal_iteratorINSA_10device_ptrIfEEEE22summary_stats_unary_opIfEEEPS6_S6_23summary_stats_binary_opIfEEE10hipError_tPvRmT1_T2_T3_mT4_P12ihipStream_tbEUlT_E0_NS1_11comp_targetILNS1_3genE2ELNS1_11target_archE906ELNS1_3gpuE6ELNS1_3repE0EEENS1_30default_config_static_selectorELNS0_4arch9wavefront6targetE1EEEvSR_,comdat
	.protected	_ZN7rocprim17ROCPRIM_400000_NS6detail17trampoline_kernelINS0_14default_configENS1_22reduce_config_selectorI18summary_stats_dataIfEEEZNS1_11reduce_implILb1ES3_N6thrust23THRUST_200600_302600_NS11hip_rocprim26transform_input_iterator_tIS6_NSA_6detail15normal_iteratorINSA_10device_ptrIfEEEE22summary_stats_unary_opIfEEEPS6_S6_23summary_stats_binary_opIfEEE10hipError_tPvRmT1_T2_T3_mT4_P12ihipStream_tbEUlT_E0_NS1_11comp_targetILNS1_3genE2ELNS1_11target_archE906ELNS1_3gpuE6ELNS1_3repE0EEENS1_30default_config_static_selectorELNS0_4arch9wavefront6targetE1EEEvSR_ ; -- Begin function _ZN7rocprim17ROCPRIM_400000_NS6detail17trampoline_kernelINS0_14default_configENS1_22reduce_config_selectorI18summary_stats_dataIfEEEZNS1_11reduce_implILb1ES3_N6thrust23THRUST_200600_302600_NS11hip_rocprim26transform_input_iterator_tIS6_NSA_6detail15normal_iteratorINSA_10device_ptrIfEEEE22summary_stats_unary_opIfEEEPS6_S6_23summary_stats_binary_opIfEEE10hipError_tPvRmT1_T2_T3_mT4_P12ihipStream_tbEUlT_E0_NS1_11comp_targetILNS1_3genE2ELNS1_11target_archE906ELNS1_3gpuE6ELNS1_3repE0EEENS1_30default_config_static_selectorELNS0_4arch9wavefront6targetE1EEEvSR_
	.globl	_ZN7rocprim17ROCPRIM_400000_NS6detail17trampoline_kernelINS0_14default_configENS1_22reduce_config_selectorI18summary_stats_dataIfEEEZNS1_11reduce_implILb1ES3_N6thrust23THRUST_200600_302600_NS11hip_rocprim26transform_input_iterator_tIS6_NSA_6detail15normal_iteratorINSA_10device_ptrIfEEEE22summary_stats_unary_opIfEEEPS6_S6_23summary_stats_binary_opIfEEE10hipError_tPvRmT1_T2_T3_mT4_P12ihipStream_tbEUlT_E0_NS1_11comp_targetILNS1_3genE2ELNS1_11target_archE906ELNS1_3gpuE6ELNS1_3repE0EEENS1_30default_config_static_selectorELNS0_4arch9wavefront6targetE1EEEvSR_
	.p2align	8
	.type	_ZN7rocprim17ROCPRIM_400000_NS6detail17trampoline_kernelINS0_14default_configENS1_22reduce_config_selectorI18summary_stats_dataIfEEEZNS1_11reduce_implILb1ES3_N6thrust23THRUST_200600_302600_NS11hip_rocprim26transform_input_iterator_tIS6_NSA_6detail15normal_iteratorINSA_10device_ptrIfEEEE22summary_stats_unary_opIfEEEPS6_S6_23summary_stats_binary_opIfEEE10hipError_tPvRmT1_T2_T3_mT4_P12ihipStream_tbEUlT_E0_NS1_11comp_targetILNS1_3genE2ELNS1_11target_archE906ELNS1_3gpuE6ELNS1_3repE0EEENS1_30default_config_static_selectorELNS0_4arch9wavefront6targetE1EEEvSR_,@function
_ZN7rocprim17ROCPRIM_400000_NS6detail17trampoline_kernelINS0_14default_configENS1_22reduce_config_selectorI18summary_stats_dataIfEEEZNS1_11reduce_implILb1ES3_N6thrust23THRUST_200600_302600_NS11hip_rocprim26transform_input_iterator_tIS6_NSA_6detail15normal_iteratorINSA_10device_ptrIfEEEE22summary_stats_unary_opIfEEEPS6_S6_23summary_stats_binary_opIfEEE10hipError_tPvRmT1_T2_T3_mT4_P12ihipStream_tbEUlT_E0_NS1_11comp_targetILNS1_3genE2ELNS1_11target_archE906ELNS1_3gpuE6ELNS1_3repE0EEENS1_30default_config_static_selectorELNS0_4arch9wavefront6targetE1EEEvSR_: ; @_ZN7rocprim17ROCPRIM_400000_NS6detail17trampoline_kernelINS0_14default_configENS1_22reduce_config_selectorI18summary_stats_dataIfEEEZNS1_11reduce_implILb1ES3_N6thrust23THRUST_200600_302600_NS11hip_rocprim26transform_input_iterator_tIS6_NSA_6detail15normal_iteratorINSA_10device_ptrIfEEEE22summary_stats_unary_opIfEEEPS6_S6_23summary_stats_binary_opIfEEE10hipError_tPvRmT1_T2_T3_mT4_P12ihipStream_tbEUlT_E0_NS1_11comp_targetILNS1_3genE2ELNS1_11target_archE906ELNS1_3gpuE6ELNS1_3repE0EEENS1_30default_config_static_selectorELNS0_4arch9wavefront6targetE1EEEvSR_
; %bb.0:
	s_load_dwordx8 s[8:15], s[4:5], 0x10
	s_load_dwordx2 s[0:1], s[4:5], 0x0
	s_load_dwordx2 s[24:25], s[4:5], 0x30
	s_load_dwordx8 s[16:23], s[4:5], 0x38
	s_mov_b32 s27, 0
	s_waitcnt lgkmcnt(0)
	s_lshl_b64 s[2:3], s[8:9], 2
	s_add_u32 s4, s0, s2
	s_addc_u32 s5, s1, s3
	s_lshl_b32 s26, s6, 9
	s_lshr_b64 s[0:1], s[10:11], 9
	s_lshl_b64 s[2:3], s[26:27], 2
	s_add_u32 s23, s4, s2
	s_mov_b32 s7, s27
	s_addc_u32 s27, s5, s3
	s_cmp_lg_u64 s[0:1], s[6:7]
	v_lshlrev_b32_e32 v2, 2, v0
	v_mbcnt_lo_u32_b32 v1, -1, 0
	s_cbranch_scc0 .LBB22_6
; %bb.1:
	v_mov_b32_e32 v4, s27
	v_add_co_u32_e32 v3, vcc, s23, v2
	v_addc_co_u32_e32 v4, vcc, 0, v4, vcc
	flat_load_dword v5, v[3:4]
	flat_load_dword v6, v[3:4] offset:1024
	v_mov_b32_e32 v4, 2.0
	s_mov_b32 s1, 0x3e000000
	s_mov_b32 s0, 0x3e800000
	v_mov_b32_dpp v4, v4 quad_perm:[1,0,3,2] row_mask:0xf bank_mask:0xf bound_ctrl:1
	v_add_f32_e32 v7, 2.0, v4
	v_mul_f32_e32 v9, v4, v4
	v_add_f32_e32 v8, -2.0, v4
	v_fma_f32 v11, -2.0, v4, v9
	v_add_f32_e32 v11, 4.0, v11
	v_mul_f32_e32 v10, v7, v7
	v_mul_f32_e32 v12, v7, v10
	v_mbcnt_hi_u32_b32 v3, -1, v1
	s_waitcnt vmcnt(0) lgkmcnt(0)
	v_cmp_lt_f32_e32 vcc, v6, v5
	v_sub_f32_e32 v13, v6, v5
	v_cndmask_b32_e32 v14, v5, v6, vcc
	v_cmp_lt_f32_e32 vcc, v5, v6
	v_cndmask_b32_e32 v6, v5, v6, vcc
	v_fmac_f32_e32 v5, 0.5, v13
	v_mov_b32_dpp v18, v14 quad_perm:[1,0,3,2] row_mask:0xf bank_mask:0xf bound_ctrl:1
	v_mul_f32_e32 v15, v13, v13
	v_mov_b32_dpp v19, v6 quad_perm:[1,0,3,2] row_mask:0xf bank_mask:0xf bound_ctrl:1
	v_mov_b32_dpp v23, v5 quad_perm:[1,0,3,2] row_mask:0xf bank_mask:0xf bound_ctrl:1
	v_cmp_lt_f32_e32 vcc, v14, v18
	v_mul_f32_e32 v20, v13, v15
	v_mul_f32_e32 v21, 0.5, v15
	v_mul_f32_e32 v22, 0x40c00000, v15
	v_cndmask_b32_e32 v14, v18, v14, vcc
	v_cmp_gt_f32_e32 vcc, v6, v19
	v_sub_f32_e32 v5, v5, v23
	v_mul_f32_e32 v16, 0x40400000, v13
	v_mul_f32_e32 v17, 4.0, v13
	v_cndmask_b32_e32 v6, v19, v6, vcc
	v_mul_f32_e32 v13, v13, v20
	v_mul_f32_e32 v18, 0, v20
	;; [unrolled: 1-line block ×3, first 2 shown]
	v_mov_b32_dpp v20, v21 quad_perm:[1,0,3,2] row_mask:0xf bank_mask:0xf bound_ctrl:1
	v_mul_f32_e32 v22, v5, v5
	v_fma_f32 v13, v13, s1, 0
	v_add_f32_e32 v24, v5, v5
	v_add_f32_e32 v26, v20, v20
	v_mul_f32_e32 v28, v22, v4
	v_fma_f32 v18, v18, s0, 0
	v_mul_f32_e32 v25, 0x40400000, v5
	v_fmac_f32_e32 v13, 0x3e800000, v19
	v_div_scale_f32 v19, s[0:1], v7, v7, v24
	v_fma_f32 v26, v21, v4, -v26
	v_add_f32_e32 v28, v28, v28
	v_mul_f32_e32 v25, v25, v26
	v_div_scale_f32 v26, s[0:1], v7, v7, v28
	v_div_scale_f32 v29, s[0:1], v7, v7, v25
	v_div_scale_f32 v27, vcc, v24, v7, v24
	v_mul_f32_e32 v16, 0, v16
	v_div_scale_f32 v30, s[0:1], v28, v7, v28
	v_mul_f32_e32 v17, 0, v17
	v_fmac_f32_e32 v18, 0.5, v16
	v_mul_f32_e32 v16, v5, v22
	v_fmac_f32_e32 v13, 0.5, v17
	v_mul_f32_e32 v17, v5, v16
	v_mul_f32_e32 v16, v16, v4
	v_add_f32_e32 v16, v16, v16
	v_mul_f32_e32 v17, v17, v4
	v_mul_f32_e32 v8, v8, v16
	v_add_f32_e32 v16, v17, v17
	v_mul_f32_e32 v11, v11, v16
	v_rcp_f32_e32 v16, v19
	v_div_scale_f32 v17, s[4:5], v10, v10, v8
	v_rcp_f32_e32 v33, v26
	v_rcp_f32_e32 v34, v29
	v_div_scale_f32 v32, s[4:5], v12, v12, v11
	v_fma_f32 v35, -v19, v16, 1.0
	v_div_scale_f32 v31, s[2:3], v25, v7, v25
	v_fmac_f32_e32 v16, v35, v16
	v_fma_f32 v36, -v26, v33, 1.0
	v_mul_f32_e32 v35, v27, v16
	v_fmac_f32_e32 v33, v36, v33
	v_fma_f32 v36, -v29, v34, 1.0
	v_fmac_f32_e32 v34, v36, v34
	v_fma_f32 v36, -v19, v35, v27
	v_fmac_f32_e32 v35, v36, v16
	v_div_scale_f32 v36, s[4:5], v8, v10, v8
	v_fma_f32 v19, -v19, v35, v27
	v_div_fmas_f32 v16, v19, v16, v35
	v_mul_f32_e32 v19, v30, v33
	v_fma_f32 v35, -v26, v19, v30
	v_fmac_f32_e32 v19, v35, v33
	v_fma_f32 v26, -v26, v19, v30
	s_mov_b64 vcc, s[0:1]
	v_div_scale_f32 v27, s[8:9], v11, v12, v11
	v_div_fmas_f32 v19, v26, v33, v19
	v_rcp_f32_e32 v35, v17
	v_rcp_f32_e32 v30, v32
	v_mul_f32_e32 v33, v31, v34
	s_mov_b64 vcc, s[4:5]
	v_fma_f32 v26, -v17, v35, 1.0
	v_fmac_f32_e32 v35, v26, v35
	v_fma_f32 v26, -v29, v33, v31
	v_fmac_f32_e32 v33, v26, v34
	v_fma_f32 v26, -v32, v30, 1.0
	v_fmac_f32_e32 v30, v26, v30
	v_mul_f32_e32 v26, v36, v35
	v_fma_f32 v29, -v29, v33, v31
	v_fma_f32 v31, -v17, v26, v36
	v_fmac_f32_e32 v26, v31, v35
	v_fma_f32 v17, -v17, v26, v36
	v_fma_f32 v15, 0.5, v15, v20
	v_div_fmas_f32 v17, v17, v35, v26
	v_mul_f32_e32 v20, 4.0, v20
	v_mul_f32_e32 v22, 0x40c00000, v22
	v_fmac_f32_e32 v20, v21, v9
	v_mul_f32_e32 v9, v22, v20
	v_mul_f32_e32 v26, v27, v30
	v_div_fixup_f32 v19, v19, v7, v28
	v_div_scale_f32 v20, s[0:1], v10, v10, v9
	v_add_f32_e32 v15, v15, v19
	v_fma_f32 v19, -v32, v26, v27
	s_mov_b64 vcc, s[2:3]
	v_fmac_f32_e32 v26, v19, v30
	v_div_fmas_f32 v29, v29, v34, v33
	v_fma_f32 v19, -v32, v26, v27
	s_mov_b64 vcc, s[8:9]
	v_mov_b32_dpp v31, v18 quad_perm:[1,0,3,2] row_mask:0xf bank_mask:0xf bound_ctrl:1
	v_div_fmas_f32 v19, v19, v30, v26
	v_add_f32_e32 v22, v31, v31
	v_div_scale_f32 v21, vcc, v9, v10, v9
	v_mul_f32_e32 v5, 4.0, v5
	v_fma_f32 v4, v18, v4, -v22
	v_mul_f32_e32 v4, v5, v4
	v_div_scale_f32 v5, s[0:1], v7, v7, v4
	v_add_f32_e32 v18, v18, v31
	v_div_fixup_f32 v8, v17, v10, v8
	v_add_f32_e32 v8, v18, v8
	v_div_scale_f32 v18, s[0:1], v4, v7, v4
	v_rcp_f32_e32 v22, v20
	v_div_fixup_f32 v17, v29, v7, v25
	v_div_fixup_f32 v11, v19, v12, v11
	v_add_f32_e32 v8, v17, v8
	v_fma_f32 v12, -v20, v22, 1.0
	v_fmac_f32_e32 v22, v12, v22
	v_mul_f32_e32 v12, v21, v22
	v_fma_f32 v17, -v20, v12, v21
	v_fmac_f32_e32 v12, v17, v22
	v_rcp_f32_e32 v17, v5
	v_fma_f32 v19, -v20, v12, v21
	v_div_fmas_f32 v12, v19, v22, v12
	v_div_fixup_f32 v16, v16, v7, v24
	v_fma_f32 v19, -v5, v17, 1.0
	v_fmac_f32_e32 v17, v19, v17
	v_mul_f32_e32 v19, v18, v17
	v_fma_f32 v20, -v5, v19, v18
	v_fmac_f32_e32 v19, v20, v17
	v_add_f32_e32 v16, v16, v23
	v_fma_f32 v5, -v5, v19, v18
	s_mov_b64 vcc, s[0:1]
	v_div_fmas_f32 v5, v5, v17, v19
	v_mov_b32_dpp v18, v16 quad_perm:[2,3,0,1] row_mask:0xf bank_mask:0xf bound_ctrl:1
	v_mov_b32_dpp v17, v7 quad_perm:[2,3,0,1] row_mask:0xf bank_mask:0xf bound_ctrl:1
	v_sub_f32_e32 v16, v16, v18
	v_add_f32_e32 v19, v7, v17
	v_mul_f32_e32 v20, v7, v16
	v_div_scale_f32 v21, s[0:1], v19, v19, v20
	v_mov_b32_dpp v36, v13 quad_perm:[1,0,3,2] row_mask:0xf bank_mask:0xf bound_ctrl:1
	v_add_f32_e32 v13, v13, v36
	v_div_fixup_f32 v9, v12, v10, v9
	v_mul_f32_e32 v12, v16, v16
	v_add_f32_e32 v11, v13, v11
	v_div_scale_f32 v13, vcc, v20, v19, v20
	v_mul_f32_e32 v22, v12, v17
	v_mul_f32_e32 v22, v7, v22
	v_div_scale_f32 v23, s[0:1], v19, v19, v22
	v_add_f32_e32 v9, v9, v11
	v_div_fixup_f32 v4, v5, v7, v4
	v_add_f32_e32 v4, v4, v9
	v_div_scale_f32 v9, s[0:1], v22, v19, v22
	v_rcp_f32_e32 v11, v21
	v_mul_f32_e32 v26, v16, v12
	v_mul_f32_e32 v25, v19, v19
	v_mov_b32_dpp v5, v14 quad_perm:[2,3,0,1] row_mask:0xf bank_mask:0xf bound_ctrl:1
	v_fma_f32 v27, -v21, v11, 1.0
	v_fmac_f32_e32 v11, v27, v11
	v_mul_f32_e32 v27, v13, v11
	v_fma_f32 v28, -v21, v27, v13
	v_fmac_f32_e32 v27, v28, v11
	v_rcp_f32_e32 v28, v23
	v_fma_f32 v13, -v21, v27, v13
	v_div_fmas_f32 v11, v13, v11, v27
	s_mov_b64 vcc, s[0:1]
	v_fma_f32 v13, -v23, v28, 1.0
	v_fmac_f32_e32 v28, v13, v28
	v_mul_f32_e32 v13, v9, v28
	v_fma_f32 v21, -v23, v13, v9
	v_fmac_f32_e32 v13, v21, v28
	v_fma_f32 v9, -v23, v13, v9
	v_div_fmas_f32 v9, v9, v28, v13
	v_mul_f32_e32 v13, v26, v17
	v_mul_f32_e32 v13, v7, v13
	v_sub_f32_e32 v21, v17, v7
	v_mul_f32_e32 v13, v21, v13
	v_div_scale_f32 v21, s[0:1], v25, v25, v13
	v_mov_b32_dpp v24, v6 quad_perm:[2,3,0,1] row_mask:0xf bank_mask:0xf bound_ctrl:1
	v_cmp_lt_f32_e32 vcc, v14, v5
	v_mov_b32_dpp v23, v15 quad_perm:[2,3,0,1] row_mask:0xf bank_mask:0xf bound_ctrl:1
	v_cndmask_b32_e32 v5, v5, v14, vcc
	v_cmp_gt_f32_e32 vcc, v6, v24
	v_cndmask_b32_e32 v6, v24, v6, vcc
	v_mul_f32_e32 v24, v7, v23
	v_div_fixup_f32 v11, v11, v19, v20
	v_div_scale_f32 v20, vcc, v13, v25, v13
	v_div_fixup_f32 v9, v9, v19, v22
	v_mul_f32_e32 v22, 0x40400000, v16
	v_fma_f32 v24, v15, v17, -v24
	v_mul_f32_e32 v22, v22, v24
	v_div_scale_f32 v24, s[0:1], v19, v19, v22
	v_div_scale_f32 v30, s[0:1], v22, v19, v22
	v_mul_f32_e32 v26, v16, v26
	v_add_f32_e32 v11, v11, v18
	v_rcp_f32_e32 v18, v21
	v_mul_f32_e32 v31, v17, v17
	v_mul_f32_e32 v26, v26, v17
	v_fma_f32 v32, -v7, v17, v31
	v_mul_f32_e32 v26, v7, v26
	v_fmac_f32_e32 v32, v7, v7
	v_mul_f32_e32 v29, v19, v25
	v_mul_f32_e32 v26, v32, v26
	v_div_scale_f32 v32, s[2:3], v29, v29, v26
	v_fma_f32 v33, -v21, v18, 1.0
	v_fmac_f32_e32 v18, v33, v18
	v_mul_f32_e32 v33, v20, v18
	v_fma_f32 v34, -v21, v33, v20
	v_fmac_f32_e32 v33, v34, v18
	v_rcp_f32_e32 v34, v24
	v_fma_f32 v20, -v21, v33, v20
	v_div_fmas_f32 v18, v20, v18, v33
	v_mul_f32_e32 v10, v10, v23
	v_fma_f32 v20, -v24, v34, 1.0
	v_fmac_f32_e32 v34, v20, v34
	v_mul_f32_e32 v20, v30, v34
	v_fma_f32 v21, -v24, v20, v30
	v_fmac_f32_e32 v20, v21, v34
	v_fma_f32 v21, -v24, v20, v30
	v_div_scale_f32 v30, s[2:3], v26, v29, v26
	v_mul_f32_e32 v12, 0x40c00000, v12
	v_fmac_f32_e32 v10, v31, v15
	v_mul_f32_e32 v10, v12, v10
	v_div_scale_f32 v12, s[4:5], v25, v25, v10
	v_rcp_f32_e32 v24, v32
	s_mov_b64 vcc, s[0:1]
	v_mov_b32_dpp v27, v8 quad_perm:[2,3,0,1] row_mask:0xf bank_mask:0xf bound_ctrl:1
	v_add_f32_e32 v14, v15, v23
	v_div_fmas_f32 v15, v21, v34, v20
	v_fma_f32 v20, -v32, v24, 1.0
	v_fmac_f32_e32 v24, v20, v24
	v_div_scale_f32 v20, s[0:1], v10, v25, v10
	v_mul_f32_e32 v7, v7, v27
	v_mul_f32_e32 v16, 4.0, v16
	v_fma_f32 v7, v8, v17, -v7
	v_mul_f32_e32 v7, v16, v7
	v_add_f32_e32 v9, v14, v9
	v_add_f32_e32 v14, v8, v27
	v_div_scale_f32 v8, s[4:5], v19, v19, v7
	v_mul_f32_e32 v16, v30, v24
	v_fma_f32 v17, -v32, v16, v30
	v_div_scale_f32 v21, s[4:5], v7, v19, v7
	v_fmac_f32_e32 v16, v17, v24
	v_rcp_f32_e32 v17, v12
	v_fma_f32 v23, -v32, v16, v30
	s_mov_b64 vcc, s[2:3]
	v_div_fmas_f32 v16, v23, v24, v16
	v_fma_f32 v23, -v12, v17, 1.0
	v_fmac_f32_e32 v17, v23, v17
	v_mul_f32_e32 v23, v20, v17
	v_fma_f32 v24, -v12, v23, v20
	v_fmac_f32_e32 v23, v24, v17
	v_fma_f32 v12, -v12, v23, v20
	v_rcp_f32_e32 v20, v8
	s_mov_b64 vcc, s[0:1]
	v_div_fmas_f32 v12, v12, v17, v23
	v_div_fixup_f32 v13, v18, v25, v13
	v_fma_f32 v17, -v8, v20, 1.0
	v_fmac_f32_e32 v20, v17, v20
	v_mul_f32_e32 v17, v21, v20
	v_fma_f32 v18, -v8, v17, v21
	v_fmac_f32_e32 v17, v18, v20
	v_fma_f32 v8, -v8, v17, v21
	s_mov_b64 vcc, s[4:5]
	v_div_fmas_f32 v8, v8, v20, v17
	v_mov_b32_dpp v28, v4 quad_perm:[2,3,0,1] row_mask:0xf bank_mask:0xf bound_ctrl:1
	v_add_f32_e32 v13, v14, v13
	v_div_fixup_f32 v14, v15, v19, v22
	v_add_f32_e32 v13, v14, v13
	v_add_f32_e32 v4, v4, v28
	v_div_fixup_f32 v14, v16, v29, v26
	v_add_f32_e32 v4, v4, v14
	v_div_fixup_f32 v10, v12, v25, v10
	v_mov_b32_dpp v14, v11 row_ror:4 row_mask:0xf bank_mask:0xf bound_ctrl:1
	v_mov_b32_dpp v12, v19 row_ror:4 row_mask:0xf bank_mask:0xf bound_ctrl:1
	v_sub_f32_e32 v11, v11, v14
	v_add_f32_e32 v15, v19, v12
	v_mul_f32_e32 v16, v19, v11
	v_div_scale_f32 v17, s[0:1], v15, v15, v16
	v_div_fixup_f32 v7, v8, v19, v7
	v_div_scale_f32 v8, vcc, v16, v15, v16
	v_mul_f32_e32 v18, v11, v11
	v_mul_f32_e32 v20, v18, v12
	;; [unrolled: 1-line block ×3, first 2 shown]
	v_div_scale_f32 v21, s[0:1], v15, v15, v20
	v_mul_f32_e32 v28, v11, v18
	v_mul_f32_e32 v29, v11, v28
	;; [unrolled: 1-line block ×5, first 2 shown]
	v_mov_b32_dpp v22, v9 row_ror:4 row_mask:0xf bank_mask:0xf bound_ctrl:1
	v_rcp_f32_e32 v26, v17
	v_mul_f32_e32 v34, v19, v22
	v_mul_f32_e32 v33, 0x40400000, v11
	v_fma_f32 v34, v9, v12, -v34
	v_fma_f32 v30, -v17, v26, 1.0
	v_fmac_f32_e32 v26, v30, v26
	v_mul_f32_e32 v30, v8, v26
	v_fma_f32 v31, -v17, v30, v8
	v_fmac_f32_e32 v30, v31, v26
	v_fma_f32 v8, -v17, v30, v8
	v_div_fmas_f32 v8, v8, v26, v30
	v_div_scale_f32 v26, vcc, v20, v15, v20
	v_sub_f32_e32 v30, v12, v19
	v_mul_f32_e32 v28, v30, v28
	v_div_scale_f32 v30, s[0:1], v24, v24, v28
	v_rcp_f32_e32 v17, v21
	v_div_scale_f32 v32, s[0:1], v28, v24, v28
	v_mul_f32_e32 v33, v33, v34
	v_div_scale_f32 v34, s[2:3], v15, v15, v33
	v_fma_f32 v31, -v21, v17, 1.0
	v_fmac_f32_e32 v17, v31, v17
	v_mul_f32_e32 v29, v29, v12
	v_mul_f32_e32 v29, v19, v29
	;; [unrolled: 1-line block ×3, first 2 shown]
	v_fma_f32 v35, -v21, v31, v26
	v_fmac_f32_e32 v31, v35, v17
	v_div_scale_f32 v35, s[2:3], v33, v15, v33
	v_rcp_f32_e32 v36, v30
	v_fma_f32 v21, -v21, v31, v26
	v_div_fmas_f32 v17, v21, v17, v31
	s_mov_b64 vcc, s[0:1]
	v_fma_f32 v21, -v30, v36, 1.0
	v_fmac_f32_e32 v36, v21, v36
	v_mul_f32_e32 v21, v32, v36
	v_fma_f32 v26, -v30, v21, v32
	v_fmac_f32_e32 v21, v26, v36
	v_rcp_f32_e32 v26, v34
	v_fma_f32 v30, -v30, v21, v32
	v_div_fmas_f32 v21, v30, v36, v21
	s_mov_b64 vcc, s[2:3]
	v_fma_f32 v30, -v34, v26, 1.0
	v_fmac_f32_e32 v26, v30, v26
	v_mul_f32_e32 v30, v35, v26
	v_fma_f32 v31, -v34, v30, v35
	v_fmac_f32_e32 v30, v31, v26
	v_fma_f32 v31, -v34, v30, v35
	v_div_fmas_f32 v26, v31, v26, v30
	v_mul_f32_e32 v30, v12, v12
	v_fma_f32 v31, -v19, v12, v30
	v_fmac_f32_e32 v31, v19, v19
	v_mul_f32_e32 v27, v15, v24
	v_mul_f32_e32 v29, v31, v29
	v_div_scale_f32 v31, s[0:1], v27, v27, v29
	v_add_f32_e32 v4, v10, v4
	v_add_f32_e32 v4, v7, v4
	v_mov_b32_dpp v7, v5 row_ror:4 row_mask:0xf bank_mask:0xf bound_ctrl:1
	v_mov_b32_dpp v10, v6 row_ror:4 row_mask:0xf bank_mask:0xf bound_ctrl:1
	v_cmp_lt_f32_e32 vcc, v5, v7
	v_cndmask_b32_e32 v5, v7, v5, vcc
	v_cmp_gt_f32_e32 vcc, v6, v10
	v_cndmask_b32_e32 v6, v10, v6, vcc
	v_div_fixup_f32 v7, v8, v15, v16
	v_div_scale_f32 v16, vcc, v29, v27, v29
	v_div_fixup_f32 v10, v17, v15, v20
	v_mul_f32_e32 v17, 0x40c00000, v18
	v_mul_f32_e32 v18, v25, v22
	v_fmac_f32_e32 v18, v30, v9
	v_add_f32_e32 v8, v9, v22
	v_mul_f32_e32 v9, v17, v18
	v_div_scale_f32 v17, s[0:1], v24, v24, v9
	v_mov_b32_dpp v23, v13 row_ror:4 row_mask:0xf bank_mask:0xf bound_ctrl:1
	v_add_f32_e32 v7, v7, v14
	v_add_f32_e32 v8, v8, v10
	;; [unrolled: 1-line block ×3, first 2 shown]
	v_div_fixup_f32 v14, v21, v24, v28
	v_add_f32_e32 v10, v10, v14
	v_div_fixup_f32 v14, v26, v15, v33
	v_mul_f32_e32 v19, v19, v23
	v_add_f32_e32 v10, v14, v10
	v_rcp_f32_e32 v14, v31
	v_div_scale_f32 v20, s[0:1], v9, v24, v9
	v_mul_f32_e32 v11, 4.0, v11
	v_fma_f32 v12, v13, v12, -v19
	v_mul_f32_e32 v11, v11, v12
	v_div_scale_f32 v12, s[2:3], v15, v15, v11
	v_fma_f32 v18, -v31, v14, 1.0
	v_fmac_f32_e32 v14, v18, v14
	v_mul_f32_e32 v13, v16, v14
	v_fma_f32 v18, -v31, v13, v16
	v_fmac_f32_e32 v13, v18, v14
	v_div_scale_f32 v18, s[2:3], v11, v15, v11
	v_rcp_f32_e32 v19, v17
	v_fma_f32 v16, -v31, v13, v16
	v_div_fmas_f32 v13, v16, v14, v13
	s_mov_b64 vcc, s[0:1]
	v_fma_f32 v14, -v17, v19, 1.0
	v_fmac_f32_e32 v19, v14, v19
	v_mul_f32_e32 v14, v20, v19
	v_fma_f32 v16, -v17, v14, v20
	v_fmac_f32_e32 v14, v16, v19
	v_rcp_f32_e32 v16, v12
	v_fma_f32 v17, -v17, v14, v20
	v_div_fmas_f32 v14, v17, v19, v14
	s_mov_b64 vcc, s[2:3]
	v_fma_f32 v17, -v12, v16, 1.0
	v_fmac_f32_e32 v16, v17, v16
	v_mul_f32_e32 v17, v18, v16
	v_fma_f32 v19, -v12, v17, v18
	v_fmac_f32_e32 v17, v19, v16
	v_fma_f32 v12, -v12, v17, v18
	v_div_fmas_f32 v12, v12, v16, v17
	v_mov_b32_dpp v17, v7 row_ror:8 row_mask:0xf bank_mask:0xf bound_ctrl:1
	v_mov_b32_dpp v16, v15 row_ror:8 row_mask:0xf bank_mask:0xf bound_ctrl:1
	v_sub_f32_e32 v7, v7, v17
	v_add_f32_e32 v18, v15, v16
	v_mul_f32_e32 v19, v15, v7
	v_div_scale_f32 v20, s[0:1], v18, v18, v19
	v_mul_f32_e32 v21, v7, v7
	v_div_scale_f32 v22, vcc, v19, v18, v19
	v_mul_f32_e32 v23, v21, v16
	v_mul_f32_e32 v23, v15, v23
	v_div_scale_f32 v25, s[0:1], v18, v18, v23
	v_mov_b32_dpp v32, v4 row_ror:4 row_mask:0xf bank_mask:0xf bound_ctrl:1
	v_add_f32_e32 v4, v4, v32
	v_div_fixup_f32 v13, v13, v27, v29
	v_add_f32_e32 v4, v4, v13
	v_div_fixup_f32 v9, v14, v24, v9
	;; [unrolled: 2-line block ×3, first 2 shown]
	v_div_scale_f32 v11, s[0:1], v23, v18, v23
	v_rcp_f32_e32 v12, v20
	v_mul_f32_e32 v13, v7, v21
	v_add_f32_e32 v4, v9, v4
	v_mul_f32_e32 v9, v18, v18
	v_fma_f32 v14, -v20, v12, 1.0
	v_fmac_f32_e32 v12, v14, v12
	v_mul_f32_e32 v14, v22, v12
	v_fma_f32 v26, -v20, v14, v22
	v_fmac_f32_e32 v14, v26, v12
	v_rcp_f32_e32 v26, v25
	v_fma_f32 v20, -v20, v14, v22
	v_div_fmas_f32 v12, v20, v12, v14
	s_mov_b64 vcc, s[0:1]
	v_fma_f32 v14, -v25, v26, 1.0
	v_fmac_f32_e32 v26, v14, v26
	v_mul_f32_e32 v14, v11, v26
	v_fma_f32 v20, -v25, v14, v11
	v_fmac_f32_e32 v14, v20, v26
	v_fma_f32 v11, -v25, v14, v11
	v_div_fmas_f32 v11, v11, v26, v14
	v_mul_f32_e32 v20, v13, v16
	v_mul_f32_e32 v20, v15, v20
	v_sub_f32_e32 v22, v16, v15
	v_mul_f32_e32 v20, v22, v20
	v_div_scale_f32 v22, s[2:3], v9, v9, v20
	v_mov_b32_dpp v14, v5 row_ror:8 row_mask:0xf bank_mask:0xf bound_ctrl:1
	v_mov_b32_dpp v25, v6 row_ror:8 row_mask:0xf bank_mask:0xf bound_ctrl:1
	v_cmp_lt_f32_e32 vcc, v5, v14
	v_cndmask_b32_e32 v5, v14, v5, vcc
	v_cmp_gt_f32_e32 vcc, v6, v25
	v_mov_b32_dpp v26, v8 row_ror:8 row_mask:0xf bank_mask:0xf bound_ctrl:1
	v_cndmask_b32_e32 v6, v25, v6, vcc
	v_div_fixup_f32 v12, v12, v18, v19
	v_div_scale_f32 v19, vcc, v20, v9, v20
	v_mul_f32_e32 v25, v15, v26
	v_div_fixup_f32 v11, v11, v18, v23
	v_mul_f32_e32 v23, 0x40400000, v7
	v_fma_f32 v25, v8, v16, -v25
	v_mul_f32_e32 v23, v23, v25
	v_div_scale_f32 v25, s[0:1], v18, v18, v23
	v_mul_f32_e32 v13, v7, v13
	v_mul_f32_e32 v31, v16, v16
	;; [unrolled: 1-line block ×3, first 2 shown]
	v_fma_f32 v32, -v15, v16, v31
	v_rcp_f32_e32 v14, v22
	v_div_scale_f32 v30, s[0:1], v23, v18, v23
	v_mul_f32_e32 v13, v15, v13
	v_fmac_f32_e32 v32, v15, v15
	v_mul_f32_e32 v29, v18, v9
	v_mul_f32_e32 v13, v32, v13
	v_div_scale_f32 v32, s[2:3], v29, v29, v13
	v_add_f32_e32 v12, v12, v17
	v_add_f32_e32 v17, v8, v26
	;; [unrolled: 1-line block ×3, first 2 shown]
	v_fma_f32 v17, -v22, v14, 1.0
	v_fmac_f32_e32 v14, v17, v14
	v_mul_f32_e32 v17, v19, v14
	v_fma_f32 v33, -v22, v17, v19
	v_fmac_f32_e32 v17, v33, v14
	v_div_scale_f32 v33, s[2:3], v13, v29, v13
	v_rcp_f32_e32 v34, v25
	v_fma_f32 v19, -v22, v17, v19
	v_div_fmas_f32 v14, v19, v14, v17
	v_mul_f32_e32 v24, v24, v26
	v_fma_f32 v17, -v25, v34, 1.0
	v_fmac_f32_e32 v34, v17, v34
	v_mul_f32_e32 v17, v30, v34
	v_fma_f32 v19, -v25, v17, v30
	v_fmac_f32_e32 v17, v19, v34
	v_rcp_f32_e32 v19, v32
	v_mul_f32_e32 v21, 0x40c00000, v21
	v_fmac_f32_e32 v24, v31, v8
	v_fma_f32 v22, -v25, v17, v30
	s_mov_b64 vcc, s[0:1]
	v_mul_f32_e32 v8, v21, v24
	v_div_fmas_f32 v17, v22, v34, v17
	v_fma_f32 v22, -v32, v19, 1.0
	v_div_scale_f32 v21, s[0:1], v9, v9, v8
	v_fmac_f32_e32 v19, v22, v19
	v_mul_f32_e32 v22, v33, v19
	v_fma_f32 v25, -v32, v22, v33
	v_mov_b32_dpp v27, v10 row_ror:8 row_mask:0xf bank_mask:0xf bound_ctrl:1
	v_fmac_f32_e32 v22, v25, v19
	v_fma_f32 v25, -v32, v22, v33
	s_mov_b64 vcc, s[2:3]
	v_mul_f32_e32 v15, v15, v27
	v_div_fmas_f32 v19, v25, v19, v22
	v_div_scale_f32 v22, vcc, v8, v9, v8
	v_mul_f32_e32 v7, 4.0, v7
	v_fma_f32 v15, v10, v16, -v15
	v_mul_f32_e32 v7, v7, v15
	v_div_scale_f32 v15, s[0:1], v18, v18, v7
	v_div_scale_f32 v16, s[0:1], v7, v18, v7
	v_add_f32_e32 v10, v10, v27
	v_div_fixup_f32 v14, v14, v9, v20
	v_add_f32_e32 v10, v10, v14
	v_div_fixup_f32 v14, v17, v18, v23
	v_rcp_f32_e32 v17, v21
	v_add_f32_e32 v10, v14, v10
	v_div_fixup_f32 v13, v19, v29, v13
	v_mov_b32_dpp v28, v4 row_ror:8 row_mask:0xf bank_mask:0xf bound_ctrl:1
	v_fma_f32 v14, -v21, v17, 1.0
	v_fmac_f32_e32 v17, v14, v17
	v_mul_f32_e32 v14, v22, v17
	v_fma_f32 v19, -v21, v14, v22
	v_fmac_f32_e32 v14, v19, v17
	v_rcp_f32_e32 v19, v15
	v_fma_f32 v20, -v21, v14, v22
	v_div_fmas_f32 v14, v20, v17, v14
	s_mov_b64 vcc, s[0:1]
	v_fma_f32 v17, -v15, v19, 1.0
	v_fmac_f32_e32 v19, v17, v19
	v_mul_f32_e32 v17, v16, v19
	v_fma_f32 v20, -v15, v17, v16
	v_fmac_f32_e32 v17, v20, v19
	v_fma_f32 v15, -v15, v17, v16
	v_div_fmas_f32 v15, v15, v19, v17
	v_mov_b32_dpp v17, v12 row_bcast:15 row_mask:0xf bank_mask:0xf bound_ctrl:1
	v_mov_b32_dpp v16, v18 row_bcast:15 row_mask:0xf bank_mask:0xf bound_ctrl:1
	v_sub_f32_e32 v12, v12, v17
	v_add_f32_e32 v19, v18, v16
	v_mul_f32_e32 v20, v18, v12
	v_div_scale_f32 v21, s[0:1], v19, v19, v20
	v_add_f32_e32 v4, v4, v28
	v_add_f32_e32 v4, v4, v13
	v_mul_f32_e32 v13, v12, v12
	v_div_fixup_f32 v8, v14, v9, v8
	v_div_scale_f32 v14, vcc, v20, v19, v20
	v_mul_f32_e32 v22, v13, v16
	v_mul_f32_e32 v22, v18, v22
	v_div_scale_f32 v23, s[0:1], v19, v19, v22
	v_add_f32_e32 v4, v8, v4
	v_div_scale_f32 v8, s[0:1], v22, v19, v22
	v_div_fixup_f32 v7, v15, v18, v7
	v_rcp_f32_e32 v15, v21
	v_mul_f32_e32 v26, v12, v13
	v_mul_f32_e32 v25, v19, v19
	v_add_f32_e32 v4, v7, v4
	v_fma_f32 v27, -v21, v15, 1.0
	v_fmac_f32_e32 v15, v27, v15
	v_mul_f32_e32 v27, v14, v15
	v_fma_f32 v28, -v21, v27, v14
	v_fmac_f32_e32 v27, v28, v15
	v_fma_f32 v14, -v21, v27, v14
	v_rcp_f32_e32 v28, v23
	v_div_fmas_f32 v14, v14, v15, v27
	s_mov_b64 vcc, s[0:1]
	v_mov_b32_dpp v7, v5 row_bcast:15 row_mask:0xf bank_mask:0xf bound_ctrl:1
	v_fma_f32 v15, -v23, v28, 1.0
	v_fmac_f32_e32 v28, v15, v28
	v_mul_f32_e32 v15, v8, v28
	v_fma_f32 v21, -v23, v15, v8
	v_fmac_f32_e32 v15, v21, v28
	v_fma_f32 v8, -v23, v15, v8
	v_div_fmas_f32 v8, v8, v28, v15
	v_mul_f32_e32 v15, v26, v16
	v_mul_f32_e32 v15, v18, v15
	v_sub_f32_e32 v21, v16, v18
	v_mul_f32_e32 v15, v21, v15
	v_div_scale_f32 v21, s[0:1], v25, v25, v15
	v_mov_b32_dpp v24, v6 row_bcast:15 row_mask:0xf bank_mask:0xf bound_ctrl:1
	v_cmp_lt_f32_e32 vcc, v5, v7
	v_mov_b32_dpp v23, v11 row_bcast:15 row_mask:0xf bank_mask:0xf bound_ctrl:1
	v_cndmask_b32_e32 v5, v7, v5, vcc
	v_cmp_gt_f32_e32 vcc, v6, v24
	v_cndmask_b32_e32 v6, v24, v6, vcc
	v_mul_f32_e32 v24, v18, v23
	v_div_fixup_f32 v7, v14, v19, v20
	v_div_scale_f32 v20, vcc, v15, v25, v15
	v_div_fixup_f32 v8, v8, v19, v22
	v_mul_f32_e32 v22, 0x40400000, v12
	v_fma_f32 v24, v11, v16, -v24
	v_mul_f32_e32 v22, v22, v24
	v_div_scale_f32 v24, s[0:1], v19, v19, v22
	v_div_scale_f32 v30, s[0:1], v22, v19, v22
	v_mul_f32_e32 v26, v12, v26
	v_add_f32_e32 v7, v7, v17
	v_rcp_f32_e32 v17, v21
	v_mul_f32_e32 v31, v16, v16
	v_mul_f32_e32 v26, v26, v16
	v_fma_f32 v32, -v18, v16, v31
	v_mul_f32_e32 v26, v18, v26
	v_fmac_f32_e32 v32, v18, v18
	v_mul_f32_e32 v29, v19, v25
	v_mul_f32_e32 v26, v32, v26
	v_div_scale_f32 v32, s[2:3], v29, v29, v26
	v_fma_f32 v33, -v21, v17, 1.0
	v_fmac_f32_e32 v17, v33, v17
	v_mul_f32_e32 v33, v20, v17
	v_fma_f32 v34, -v21, v33, v20
	v_fmac_f32_e32 v33, v34, v17
	v_rcp_f32_e32 v34, v24
	v_fma_f32 v20, -v21, v33, v20
	v_div_fmas_f32 v17, v20, v17, v33
	v_mul_f32_e32 v9, v9, v23
	v_fma_f32 v20, -v24, v34, 1.0
	v_fmac_f32_e32 v34, v20, v34
	v_mul_f32_e32 v20, v30, v34
	v_fma_f32 v21, -v24, v20, v30
	v_fmac_f32_e32 v20, v21, v34
	v_fma_f32 v21, -v24, v20, v30
	v_div_scale_f32 v30, s[2:3], v26, v29, v26
	v_mul_f32_e32 v13, 0x40c00000, v13
	v_fmac_f32_e32 v9, v31, v11
	v_mul_f32_e32 v9, v13, v9
	v_add_f32_e32 v14, v11, v23
	v_div_scale_f32 v11, s[4:5], v25, v25, v9
	v_rcp_f32_e32 v24, v32
	s_mov_b64 vcc, s[0:1]
	v_div_fmas_f32 v13, v21, v34, v20
	v_mov_b32_dpp v27, v10 row_bcast:15 row_mask:0xf bank_mask:0xf bound_ctrl:1
	v_fma_f32 v20, -v32, v24, 1.0
	v_fmac_f32_e32 v24, v20, v24
	v_div_scale_f32 v20, s[0:1], v9, v25, v9
	v_mul_f32_e32 v18, v18, v27
	v_add_f32_e32 v8, v14, v8
	v_add_f32_e32 v14, v10, v27
	v_mul_f32_e32 v12, 4.0, v12
	v_fma_f32 v10, v10, v16, -v18
	v_mul_f32_e32 v10, v12, v10
	v_div_scale_f32 v12, s[4:5], v19, v19, v10
	v_mul_f32_e32 v16, v30, v24
	v_fma_f32 v18, -v32, v16, v30
	v_fmac_f32_e32 v16, v18, v24
	v_rcp_f32_e32 v18, v11
	v_div_scale_f32 v21, s[4:5], v10, v19, v10
	v_fma_f32 v23, -v32, v16, v30
	s_mov_b64 vcc, s[2:3]
	v_div_fmas_f32 v16, v23, v24, v16
	v_fma_f32 v23, -v11, v18, 1.0
	v_fmac_f32_e32 v18, v23, v18
	v_mul_f32_e32 v23, v20, v18
	v_fma_f32 v24, -v11, v23, v20
	v_fmac_f32_e32 v23, v24, v18
	v_fma_f32 v11, -v11, v23, v20
	s_mov_b64 vcc, s[0:1]
	v_div_fmas_f32 v11, v11, v18, v23
	v_rcp_f32_e32 v20, v12
	v_div_fixup_f32 v15, v17, v25, v15
	s_mov_b64 vcc, s[4:5]
	v_mov_b32_dpp v28, v4 row_bcast:15 row_mask:0xf bank_mask:0xf bound_ctrl:1
	v_fma_f32 v17, -v12, v20, 1.0
	v_fmac_f32_e32 v20, v17, v20
	v_mul_f32_e32 v17, v21, v20
	v_fma_f32 v18, -v12, v17, v21
	v_fmac_f32_e32 v17, v18, v20
	v_fma_f32 v12, -v12, v17, v21
	v_div_fmas_f32 v12, v12, v20, v17
	v_add_f32_e32 v14, v14, v15
	v_div_fixup_f32 v13, v13, v19, v22
	v_add_f32_e32 v13, v13, v14
	v_add_f32_e32 v4, v4, v28
	v_div_fixup_f32 v14, v16, v29, v26
	v_add_f32_e32 v4, v4, v14
	v_div_fixup_f32 v9, v11, v25, v9
	v_mov_b32_dpp v14, v7 row_bcast:31 row_mask:0xf bank_mask:0xf bound_ctrl:1
	v_mov_b32_dpp v11, v19 row_bcast:31 row_mask:0xf bank_mask:0xf bound_ctrl:1
	v_sub_f32_e32 v7, v7, v14
	v_add_f32_e32 v15, v19, v11
	v_mul_f32_e32 v16, v19, v7
	v_div_scale_f32 v17, s[0:1], v15, v15, v16
	v_add_f32_e32 v4, v9, v4
	v_div_fixup_f32 v9, v12, v19, v10
	v_add_f32_e32 v4, v9, v4
	v_mul_f32_e32 v23, v7, v7
	v_mov_b32_dpp v9, v5 row_bcast:31 row_mask:0xf bank_mask:0xf bound_ctrl:1
	v_cmp_lt_f32_e32 vcc, v5, v9
	v_cndmask_b32_e32 v5, v9, v5, vcc
	v_div_scale_f32 v27, vcc, v16, v15, v16
	v_mul_f32_e32 v28, v23, v11
	v_mul_f32_e32 v28, v19, v28
	v_div_scale_f32 v29, s[0:1], v15, v15, v28
	v_mov_b32_dpp v10, v6 row_bcast:31 row_mask:0xf bank_mask:0xf bound_ctrl:1
	v_rcp_f32_e32 v9, v17
	v_cmp_gt_f32_e64 s[0:1], v6, v10
	v_cndmask_b32_e64 v6, v10, v6, s[0:1]
	v_mul_f32_e32 v24, v7, v23
	v_fma_f32 v10, -v17, v9, 1.0
	v_fmac_f32_e32 v9, v10, v9
	v_div_scale_f32 v10, s[0:1], v28, v15, v28
	v_mul_f32_e32 v26, v7, v24
	v_mul_f32_e32 v24, v24, v11
	;; [unrolled: 1-line block ×3, first 2 shown]
	v_sub_f32_e32 v30, v11, v19
	v_mul_f32_e32 v21, v15, v15
	v_mul_f32_e32 v24, v30, v24
	v_div_scale_f32 v30, s[2:3], v21, v21, v24
	v_mul_f32_e32 v31, v27, v9
	v_fma_f32 v32, -v17, v31, v27
	v_fmac_f32_e32 v31, v32, v9
	v_rcp_f32_e32 v32, v29
	v_fma_f32 v17, -v17, v31, v27
	v_div_fmas_f32 v9, v17, v9, v31
	v_mov_b32_dpp v12, v8 row_bcast:31 row_mask:0xf bank_mask:0xf bound_ctrl:1
	v_fma_f32 v17, -v29, v32, 1.0
	v_fmac_f32_e32 v32, v17, v32
	v_mul_f32_e32 v17, v10, v32
	v_fma_f32 v27, -v29, v17, v10
	v_fmac_f32_e32 v17, v27, v32
	v_fma_f32 v10, -v29, v17, v10
	s_mov_b64 vcc, s[0:1]
	v_mul_f32_e32 v31, v19, v12
	v_div_fmas_f32 v10, v10, v32, v17
	v_div_scale_f32 v27, vcc, v24, v21, v24
	v_mul_f32_e32 v29, 0x40400000, v7
	v_fma_f32 v31, v8, v11, -v31
	v_mul_f32_e32 v29, v29, v31
	v_div_scale_f32 v31, s[0:1], v15, v15, v29
	v_rcp_f32_e32 v17, v30
	v_mul_f32_e32 v33, v11, v11
	v_mul_f32_e32 v26, v26, v11
	v_fma_f32 v34, -v19, v11, v33
	v_fma_f32 v32, -v30, v17, 1.0
	v_fmac_f32_e32 v17, v32, v17
	v_div_scale_f32 v32, s[0:1], v29, v15, v29
	v_mul_f32_e32 v26, v19, v26
	v_mul_f32_e32 v35, v27, v17
	v_fma_f32 v36, -v30, v35, v27
	v_fmac_f32_e32 v35, v36, v17
	v_fmac_f32_e32 v34, v19, v19
	v_mul_f32_e32 v22, v15, v21
	v_rcp_f32_e32 v36, v31
	v_mul_f32_e32 v26, v34, v26
	v_fma_f32 v27, -v30, v35, v27
	v_div_scale_f32 v34, s[2:3], v22, v22, v26
	v_div_fmas_f32 v17, v27, v17, v35
	v_fma_f32 v27, -v31, v36, 1.0
	v_fmac_f32_e32 v36, v27, v36
	v_mul_f32_e32 v27, v32, v36
	v_fma_f32 v30, -v31, v27, v32
	v_fmac_f32_e32 v27, v30, v36
	v_fma_f32 v30, -v31, v27, v32
	s_mov_b64 vcc, s[0:1]
	v_div_fmas_f32 v27, v30, v36, v27
	v_div_scale_f32 v31, vcc, v26, v22, v26
	v_mul_f32_e32 v25, v25, v12
	v_mul_f32_e32 v23, 0x40c00000, v23
	v_fmac_f32_e32 v25, v33, v8
	v_mul_f32_e32 v23, v23, v25
	v_div_scale_f32 v25, s[0:1], v21, v21, v23
	v_mov_b32_dpp v18, v13 row_bcast:31 row_mask:0xf bank_mask:0xf bound_ctrl:1
	v_mul_f32_e32 v19, v19, v18
	v_rcp_f32_e32 v30, v34
	v_div_scale_f32 v33, s[0:1], v23, v21, v23
	v_mul_f32_e32 v7, 4.0, v7
	v_fma_f32 v11, v13, v11, -v19
	v_mul_f32_e32 v7, v7, v11
	v_div_scale_f32 v11, s[2:3], v15, v15, v7
	v_fma_f32 v32, -v34, v30, 1.0
	v_fmac_f32_e32 v30, v32, v30
	v_mul_f32_e32 v19, v31, v30
	v_fma_f32 v32, -v34, v19, v31
	v_fmac_f32_e32 v19, v32, v30
	v_div_scale_f32 v32, s[2:3], v7, v15, v7
	v_rcp_f32_e32 v35, v25
	v_fma_f32 v31, -v34, v19, v31
	v_div_fmas_f32 v19, v31, v30, v19
	s_mov_b64 vcc, s[0:1]
	v_fma_f32 v30, -v25, v35, 1.0
	v_fmac_f32_e32 v35, v30, v35
	v_mul_f32_e32 v30, v33, v35
	v_fma_f32 v31, -v25, v30, v33
	v_fmac_f32_e32 v30, v31, v35
	v_rcp_f32_e32 v31, v11
	v_fma_f32 v25, -v25, v30, v33
	v_div_fmas_f32 v25, v25, v35, v30
	s_mov_b64 vcc, s[2:3]
	v_fma_f32 v30, -v11, v31, 1.0
	v_fmac_f32_e32 v31, v30, v31
	v_mul_f32_e32 v30, v32, v31
	v_fma_f32 v33, -v11, v30, v32
	v_fmac_f32_e32 v30, v33, v31
	v_fma_f32 v11, -v11, v30, v32
	v_div_fmas_f32 v11, v11, v31, v30
	v_div_fixup_f32 v9, v9, v15, v16
	v_add_f32_e32 v14, v9, v14
	v_add_f32_e32 v8, v8, v12
	v_div_fixup_f32 v9, v10, v15, v28
	v_add_f32_e32 v12, v8, v9
	v_add_f32_e32 v8, v13, v18
	v_div_fixup_f32 v9, v17, v21, v24
	v_mov_b32_dpp v20, v4 row_bcast:31 row_mask:0xf bank_mask:0xf bound_ctrl:1
	v_add_f32_e32 v8, v8, v9
	v_div_fixup_f32 v9, v27, v15, v29
	v_add_f32_e32 v13, v9, v8
	v_add_f32_e32 v4, v4, v20
	v_div_fixup_f32 v8, v19, v22, v26
	v_add_f32_e32 v4, v4, v8
	v_div_fixup_f32 v8, v25, v21, v23
	;; [unrolled: 2-line block ×3, first 2 shown]
	v_add_f32_e32 v16, v7, v4
	v_lshlrev_b32_e32 v4, 2, v3
	v_or_b32_e32 v17, 0xfc, v4
	ds_bpermute_b32 v7, v17, v15
	ds_bpermute_b32 v8, v17, v5
	;; [unrolled: 1-line block ×7, first 2 shown]
	v_cmp_eq_u32_e32 vcc, 0, v3
	s_and_saveexec_b64 s[0:1], vcc
	s_cbranch_execz .LBB22_3
; %bb.2:
	v_lshrrev_b32_e32 v5, 6, v0
	v_mul_u32_u24_e32 v5, 28, v5
	s_waitcnt lgkmcnt(5)
	ds_write2_b32 v5, v7, v8 offset0:28 offset1:29
	s_waitcnt lgkmcnt(4)
	ds_write2_b32 v5, v9, v10 offset0:30 offset1:31
	;; [unrolled: 2-line block ×3, first 2 shown]
	s_waitcnt lgkmcnt(3)
	ds_write_b32 v5, v13 offset:136
.LBB22_3:
	s_or_b64 exec, exec, s[0:1]
	v_cmp_gt_u32_e32 vcc, 64, v0
	s_waitcnt lgkmcnt(0)
	s_barrier
	s_and_saveexec_b64 s[4:5], vcc
	s_cbranch_execz .LBB22_5
; %bb.4:
	v_and_b32_e32 v11, 3, v3
	v_mul_u32_u24_e32 v12, 28, v11
	ds_read2_b32 v[5:6], v12 offset0:28 offset1:29
	ds_read2_b32 v[7:8], v12 offset0:30 offset1:31
	;; [unrolled: 1-line block ×3, first 2 shown]
	ds_read_b32 v12, v12 offset:136
	v_cmp_ne_u32_e32 vcc, 3, v11
	v_addc_co_u32_e32 v3, vcc, 0, v3, vcc
	v_lshlrev_b32_e32 v3, 2, v3
	s_waitcnt lgkmcnt(2)
	ds_bpermute_b32 v13, v3, v8
	ds_bpermute_b32 v11, v3, v5
	;; [unrolled: 1-line block ×4, first 2 shown]
	s_waitcnt lgkmcnt(5)
	ds_bpermute_b32 v20, v3, v9
	s_waitcnt lgkmcnt(4)
	v_sub_f32_e32 v13, v13, v8
	s_waitcnt lgkmcnt(3)
	v_add_f32_e32 v14, v5, v11
	v_mul_f32_e32 v15, v13, v11
	v_div_scale_f32 v16, s[0:1], v14, v14, v15
	v_div_scale_f32 v18, vcc, v15, v14, v15
	v_mul_f32_e32 v23, v13, v13
	v_mul_f32_e32 v26, v5, v23
	v_mul_f32_e32 v26, v26, v11
	v_div_scale_f32 v28, s[0:1], v14, v14, v26
	v_mul_f32_e32 v25, v13, v23
	v_mul_f32_e32 v22, v14, v14
	s_waitcnt lgkmcnt(1)
	v_cmp_lt_f32_e64 s[2:3], v7, v19
	v_cndmask_b32_e64 v19, v7, v19, s[2:3]
	ds_bpermute_b32 v21, v3, v10
	v_mul_f32_e32 v24, v14, v22
	v_mul_f32_e32 v23, 0x40c00000, v23
	v_rcp_f32_e32 v27, v16
	ds_bpermute_b32 v3, v3, v12
	v_or_b32_e32 v4, 8, v4
	v_fma_f32 v29, -v16, v27, 1.0
	v_fmac_f32_e32 v27, v29, v27
	v_mul_f32_e32 v29, v18, v27
	v_fma_f32 v30, -v16, v29, v18
	v_fmac_f32_e32 v29, v30, v27
	v_fma_f32 v16, -v16, v29, v18
	v_div_fmas_f32 v16, v16, v27, v29
	v_mul_f32_e32 v27, v5, v25
	v_div_scale_f32 v18, vcc, v26, v14, v26
	v_mul_f32_e32 v27, v27, v11
	v_sub_f32_e32 v29, v5, v11
	v_mul_f32_e32 v27, v29, v27
	v_div_scale_f32 v29, s[0:1], v22, v22, v27
	v_cmp_gt_f32_e64 s[0:1], v6, v17
	v_cndmask_b32_e64 v6, v6, v17, s[0:1]
	v_div_scale_f32 v30, s[0:1], v27, v22, v27
	v_rcp_f32_e32 v17, v28
	v_mul_f32_e32 v25, v13, v25
	v_mul_f32_e32 v25, v5, v25
	v_div_fixup_f32 v7, v16, v14, v15
	v_add_f32_e32 v15, v8, v7
	v_fma_f32 v7, -v28, v17, 1.0
	v_fmac_f32_e32 v17, v7, v17
	v_mul_f32_e32 v7, v18, v17
	v_fma_f32 v8, -v28, v7, v18
	v_fmac_f32_e32 v7, v8, v17
	v_rcp_f32_e32 v8, v29
	v_fma_f32 v16, -v28, v7, v18
	v_div_fmas_f32 v7, v16, v17, v7
	v_mul_f32_e32 v28, v9, v11
	v_fma_f32 v16, -v29, v8, 1.0
	v_fmac_f32_e32 v8, v16, v8
	v_mul_f32_e32 v18, 0x40400000, v13
	s_waitcnt lgkmcnt(2)
	v_fma_f32 v28, v5, v20, -v28
	v_mul_f32_e32 v16, v30, v8
	v_mul_f32_e32 v18, v18, v28
	v_fma_f32 v17, -v29, v16, v30
	v_div_scale_f32 v28, s[2:3], v14, v14, v18
	v_fmac_f32_e32 v16, v17, v8
	v_fma_f32 v17, -v29, v16, v30
	s_mov_b64 vcc, s[0:1]
	v_div_fmas_f32 v8, v17, v8, v16
	v_div_scale_f32 v17, vcc, v18, v14, v18
	v_add_f32_e32 v16, v9, v20
	v_div_fixup_f32 v7, v7, v14, v26
	v_mul_f32_e32 v29, v5, v5
	v_add_f32_e32 v16, v16, v7
	v_fma_f32 v30, -v5, v11, v29
	v_mul_f32_e32 v25, v25, v11
	v_fmac_f32_e32 v30, v11, v11
	v_mul_f32_e32 v25, v30, v25
	v_rcp_f32_e32 v7, v28
	s_waitcnt lgkmcnt(1)
	v_add_f32_e32 v26, v10, v21
	v_div_scale_f32 v30, s[0:1], v24, v24, v25
	v_mul_f32_e32 v20, v29, v20
	v_div_fixup_f32 v8, v8, v22, v27
	v_add_f32_e32 v8, v26, v8
	v_fma_f32 v26, -v28, v7, 1.0
	v_fmac_f32_e32 v7, v26, v7
	v_mul_f32_e32 v26, v17, v7
	v_fma_f32 v27, -v28, v26, v17
	v_fmac_f32_e32 v26, v27, v7
	v_fma_f32 v17, -v28, v26, v17
	v_div_fmas_f32 v7, v17, v7, v26
	v_div_scale_f32 v27, vcc, v25, v24, v25
	v_mul_f32_e32 v17, v11, v11
	v_fmac_f32_e32 v20, v9, v17
	v_mul_f32_e32 v9, v23, v20
	v_div_scale_f32 v17, s[0:1], v22, v22, v9
	v_mul_f32_e32 v10, v10, v11
	v_rcp_f32_e32 v26, v30
	v_div_scale_f32 v23, s[0:1], v9, v22, v9
	v_mul_f32_e32 v13, 4.0, v13
	v_fma_f32 v5, v5, v21, -v10
	v_mul_f32_e32 v5, v13, v5
	v_div_scale_f32 v10, s[2:3], v14, v14, v5
	v_fma_f32 v20, -v30, v26, 1.0
	v_fmac_f32_e32 v26, v20, v26
	v_mul_f32_e32 v11, v27, v26
	v_fma_f32 v13, -v30, v11, v27
	v_fmac_f32_e32 v11, v13, v26
	v_div_scale_f32 v13, s[2:3], v5, v14, v5
	v_rcp_f32_e32 v20, v17
	v_fma_f32 v21, -v30, v11, v27
	v_div_fmas_f32 v11, v21, v26, v11
	s_mov_b64 vcc, s[0:1]
	v_fma_f32 v21, -v17, v20, 1.0
	v_fmac_f32_e32 v20, v21, v20
	v_mul_f32_e32 v21, v23, v20
	v_fma_f32 v26, -v17, v21, v23
	v_fmac_f32_e32 v21, v26, v20
	v_rcp_f32_e32 v26, v10
	v_fma_f32 v17, -v17, v21, v23
	v_div_fmas_f32 v17, v17, v20, v21
	s_mov_b64 vcc, s[2:3]
	v_fma_f32 v20, -v10, v26, 1.0
	v_fmac_f32_e32 v26, v20, v26
	v_mul_f32_e32 v20, v13, v26
	v_fma_f32 v21, -v10, v20, v13
	v_fmac_f32_e32 v20, v21, v26
	v_fma_f32 v10, -v10, v20, v13
	v_div_fmas_f32 v10, v10, v26, v20
	v_div_fixup_f32 v7, v7, v14, v18
	v_add_f32_e32 v13, v7, v8
	ds_bpermute_b32 v8, v4, v15
	s_waitcnt lgkmcnt(1)
	v_add_f32_e32 v3, v12, v3
	ds_bpermute_b32 v12, v4, v14
	v_div_fixup_f32 v7, v11, v24, v25
	v_add_f32_e32 v3, v3, v7
	s_waitcnt lgkmcnt(1)
	v_sub_f32_e32 v11, v8, v15
	v_div_fixup_f32 v9, v17, v22, v9
	s_waitcnt lgkmcnt(0)
	v_add_f32_e32 v7, v14, v12
	v_mul_f32_e32 v17, v11, v12
	v_div_scale_f32 v18, s[0:1], v7, v7, v17
	v_add_f32_e32 v3, v9, v3
	ds_bpermute_b32 v9, v4, v19
	v_div_fixup_f32 v5, v10, v14, v5
	v_add_f32_e32 v3, v5, v3
	ds_bpermute_b32 v5, v4, v6
	v_mul_f32_e32 v10, v11, v11
	v_mul_f32_e32 v27, v14, v10
	v_mul_f32_e32 v27, v27, v12
	v_div_scale_f32 v28, s[0:1], v7, v7, v27
	s_waitcnt lgkmcnt(0)
	v_cmp_gt_f32_e32 vcc, v6, v5
	v_cndmask_b32_e32 v8, v6, v5, vcc
	v_div_scale_f32 v6, vcc, v17, v7, v17
	v_rcp_f32_e32 v5, v18
	v_cmp_lt_f32_e64 s[0:1], v19, v9
	v_cndmask_b32_e64 v9, v19, v9, s[0:1]
	v_mul_f32_e32 v25, v11, v10
	v_fma_f32 v19, -v18, v5, 1.0
	v_fmac_f32_e32 v5, v19, v5
	v_div_scale_f32 v19, s[0:1], v27, v7, v27
	v_mul_f32_e32 v26, v11, v25
	v_mul_f32_e32 v25, v14, v25
	;; [unrolled: 1-line block ×3, first 2 shown]
	v_sub_f32_e32 v29, v14, v12
	v_mul_f32_e32 v23, v7, v7
	v_mul_f32_e32 v25, v29, v25
	;; [unrolled: 1-line block ×3, first 2 shown]
	v_fma_f32 v31, -v18, v30, v6
	v_fmac_f32_e32 v30, v31, v5
	v_rcp_f32_e32 v31, v28
	v_div_scale_f32 v29, s[2:3], v23, v23, v25
	ds_bpermute_b32 v20, v4, v16
	v_fma_f32 v6, -v18, v30, v6
	v_div_fmas_f32 v5, v6, v5, v30
	v_fma_f32 v6, -v28, v31, 1.0
	v_fmac_f32_e32 v31, v6, v31
	v_mul_f32_e32 v18, v19, v31
	v_fma_f32 v30, -v28, v18, v19
	v_mul_f32_e32 v32, v16, v12
	v_div_scale_f32 v6, s[2:3], v25, v23, v25
	v_fmac_f32_e32 v18, v30, v31
	v_mul_f32_e32 v30, 0x40400000, v11
	s_waitcnt lgkmcnt(0)
	v_fma_f32 v32, v14, v20, -v32
	v_mul_f32_e32 v30, v30, v32
	v_div_scale_f32 v32, s[8:9], v7, v7, v30
	v_fma_f32 v19, -v28, v18, v19
	s_mov_b64 vcc, s[0:1]
	v_div_fmas_f32 v18, v19, v31, v18
	v_div_scale_f32 v31, s[0:1], v30, v7, v30
	v_rcp_f32_e32 v28, v29
	v_mul_f32_e32 v26, v14, v26
	v_fma_f32 v33, -v14, v12, v22
	v_mul_f32_e32 v26, v26, v12
	v_fma_f32 v19, -v29, v28, 1.0
	v_fmac_f32_e32 v28, v19, v28
	v_mul_f32_e32 v19, v6, v28
	v_fma_f32 v34, -v29, v19, v6
	v_fmac_f32_e32 v19, v34, v28
	v_rcp_f32_e32 v34, v32
	v_fmac_f32_e32 v33, v12, v12
	v_mul_f32_e32 v24, v7, v23
	v_mul_f32_e32 v26, v33, v26
	v_fma_f32 v6, -v29, v19, v6
	s_mov_b64 vcc, s[2:3]
	v_div_scale_f32 v33, s[8:9], v24, v24, v26
	v_div_fmas_f32 v6, v6, v28, v19
	v_fma_f32 v19, -v32, v34, 1.0
	v_fmac_f32_e32 v34, v19, v34
	v_mul_f32_e32 v19, v31, v34
	v_fma_f32 v28, -v32, v19, v31
	v_fmac_f32_e32 v19, v28, v34
	v_fma_f32 v28, -v32, v19, v31
	s_mov_b64 vcc, s[0:1]
	v_div_fmas_f32 v19, v28, v34, v19
	v_div_scale_f32 v31, vcc, v26, v24, v26
	v_mul_f32_e32 v28, v12, v12
	v_mul_f32_e32 v22, v22, v20
	;; [unrolled: 1-line block ×3, first 2 shown]
	v_fmac_f32_e32 v22, v28, v16
	v_mul_f32_e32 v22, v10, v22
	v_div_scale_f32 v10, s[0:1], v23, v23, v22
	ds_bpermute_b32 v21, v4, v13
	v_mul_f32_e32 v12, v13, v12
	v_rcp_f32_e32 v29, v33
	v_div_scale_f32 v32, s[0:1], v22, v23, v22
	v_mul_f32_e32 v11, 4.0, v11
	s_waitcnt lgkmcnt(0)
	v_fma_f32 v12, v14, v21, -v12
	v_mul_f32_e32 v14, v11, v12
	v_div_scale_f32 v11, s[2:3], v7, v7, v14
	v_fma_f32 v28, -v33, v29, 1.0
	v_fmac_f32_e32 v29, v28, v29
	v_mul_f32_e32 v12, v31, v29
	v_fma_f32 v28, -v33, v12, v31
	v_fmac_f32_e32 v12, v28, v29
	v_div_scale_f32 v28, s[2:3], v14, v7, v14
	v_rcp_f32_e32 v34, v10
	v_fma_f32 v31, -v33, v12, v31
	v_div_fmas_f32 v29, v31, v29, v12
	s_mov_b64 vcc, s[0:1]
	v_fma_f32 v12, -v10, v34, 1.0
	v_fmac_f32_e32 v34, v12, v34
	v_mul_f32_e32 v12, v32, v34
	v_fma_f32 v31, -v10, v12, v32
	v_fmac_f32_e32 v12, v31, v34
	v_rcp_f32_e32 v31, v11
	v_fma_f32 v10, -v10, v12, v32
	v_div_fmas_f32 v32, v10, v34, v12
	s_mov_b64 vcc, s[2:3]
	v_fma_f32 v10, -v11, v31, 1.0
	v_fmac_f32_e32 v31, v10, v31
	v_mul_f32_e32 v10, v28, v31
	v_fma_f32 v12, -v11, v10, v28
	v_fmac_f32_e32 v10, v12, v31
	v_fma_f32 v11, -v11, v10, v28
	v_div_fmas_f32 v28, v11, v31, v10
	ds_bpermute_b32 v4, v4, v3
	v_div_fixup_f32 v5, v5, v7, v17
	v_add_f32_e32 v10, v15, v5
	v_add_f32_e32 v5, v16, v20
	v_div_fixup_f32 v11, v18, v7, v27
	s_waitcnt lgkmcnt(0)
	v_add_f32_e32 v3, v3, v4
	v_div_fixup_f32 v4, v29, v24, v26
	v_add_f32_e32 v11, v5, v11
	v_add_f32_e32 v5, v13, v21
	v_div_fixup_f32 v6, v6, v23, v25
	v_add_f32_e32 v3, v3, v4
	v_div_fixup_f32 v4, v32, v23, v22
	;; [unrolled: 2-line block ×4, first 2 shown]
	v_add_f32_e32 v12, v6, v5
	v_add_f32_e32 v13, v4, v3
.LBB22_5:
	s_or_b64 exec, exec, s[4:5]
	s_branch .LBB22_32
.LBB22_6:
                                        ; implicit-def: $vgpr7
                                        ; implicit-def: $vgpr9
                                        ; implicit-def: $vgpr11
                                        ; implicit-def: $vgpr13
	s_cbranch_execz .LBB22_32
; %bb.7:
	s_sub_i32 s2, s10, s26
	v_cmp_gt_u32_e32 vcc, s2, v0
                                        ; implicit-def: $vgpr10
	s_and_saveexec_b64 s[0:1], vcc
	s_cbranch_execz .LBB22_9
; %bb.8:
	v_mov_b32_e32 v4, s27
	v_add_co_u32_e32 v3, vcc, s23, v2
	v_addc_co_u32_e32 v4, vcc, 0, v4, vcc
	flat_load_dword v10, v[3:4]
.LBB22_9:
	s_or_b64 exec, exec, s[0:1]
	v_or_b32_e32 v3, 0x100, v0
	v_cmp_gt_u32_e32 vcc, s2, v3
	v_mov_b32_e32 v7, 1.0
	v_mov_b32_e32 v13, 0
	v_mov_b32_e32 v12, 0
	;; [unrolled: 1-line block ×3, first 2 shown]
	s_waitcnt vmcnt(0) lgkmcnt(0)
	v_mov_b32_e32 v9, v10
	v_mov_b32_e32 v8, v10
	s_and_saveexec_b64 s[0:1], vcc
	s_cbranch_execz .LBB22_11
; %bb.10:
	v_mov_b32_e32 v3, s27
	v_add_co_u32_e32 v2, vcc, s23, v2
	v_addc_co_u32_e32 v3, vcc, 0, v3, vcc
	flat_load_dword v2, v[2:3] offset:1024
	s_mov_b32 s4, 0x3e000000
	s_mov_b32 s3, 0x3e800000
	v_mov_b32_e32 v7, 2.0
	s_waitcnt vmcnt(0) lgkmcnt(0)
	v_cmp_lt_f32_e32 vcc, v2, v10
	v_sub_f32_e32 v3, v2, v10
	v_cndmask_b32_e32 v8, v10, v2, vcc
	v_cmp_lt_f32_e32 vcc, v10, v2
	v_cndmask_b32_e32 v9, v10, v2, vcc
	v_mul_f32_e32 v2, v3, v3
	v_mul_f32_e32 v6, v3, v2
	v_fmac_f32_e32 v10, 0.5, v3
	v_mul_f32_e32 v4, 0x40400000, v3
	v_mul_f32_e32 v5, 4.0, v3
	v_fma_f32 v11, v2, 0.5, 0
	v_mul_f32_e32 v2, 0x40c00000, v2
	v_mul_f32_e32 v3, v3, v6
	;; [unrolled: 1-line block ×4, first 2 shown]
	v_fma_f32 v13, v3, s4, 0
	v_mul_f32_e32 v4, 0, v4
	v_mul_f32_e32 v5, 0, v5
	v_fma_f32 v12, v6, s3, 0
	v_fmac_f32_e32 v13, 0x3e800000, v2
	v_fmac_f32_e32 v12, 0.5, v4
	v_fmac_f32_e32 v13, 0.5, v5
.LBB22_11:
	s_or_b64 exec, exec, s[0:1]
	v_mbcnt_hi_u32_b32 v1, -1, v1
	v_and_b32_e32 v2, 63, v1
	v_cmp_ne_u32_e32 vcc, 63, v2
	v_addc_co_u32_e32 v3, vcc, 0, v1, vcc
	v_lshlrev_b32_e32 v3, 2, v3
	ds_bpermute_b32 v16, v3, v7
	ds_bpermute_b32 v6, v3, v8
	ds_bpermute_b32 v5, v3, v9
	ds_bpermute_b32 v17, v3, v10
	ds_bpermute_b32 v14, v3, v11
	ds_bpermute_b32 v15, v3, v12
	ds_bpermute_b32 v4, v3, v13
	s_min_u32 s7, s2, 0x100
	v_and_b32_e32 v3, 0xc0, v0
	v_sub_u32_e64 v3, s7, v3 clamp
	v_add_u32_e32 v18, 1, v2
	v_cmp_lt_u32_e32 vcc, v18, v3
	s_and_saveexec_b64 s[0:1], vcc
	s_xor_b64 s[8:9], exec, s[0:1]
	s_cbranch_execz .LBB22_13
; %bb.12:
	s_waitcnt lgkmcnt(3)
	v_sub_f32_e32 v17, v17, v10
	v_add_f32_e32 v18, v7, v16
	v_mul_f32_e32 v19, v17, v16
	v_mul_f32_e32 v21, v17, v17
	v_div_scale_f32 v20, s[0:1], v18, v18, v19
	v_mul_f32_e32 v22, v7, v21
	v_mul_f32_e32 v22, v22, v16
	v_div_scale_f32 v23, s[0:1], v18, v18, v22
	v_div_scale_f32 v24, vcc, v19, v18, v19
	v_div_scale_f32 v28, s[0:1], v22, v18, v22
	v_mul_f32_e32 v27, v17, v21
	v_mul_f32_e32 v29, v7, v27
	v_sub_f32_e32 v25, v7, v16
	v_mul_f32_e32 v29, v29, v16
	v_mul_f32_e32 v25, v25, v29
	;; [unrolled: 1-line block ×3, first 2 shown]
	v_rcp_f32_e32 v30, v20
	v_div_scale_f32 v32, s[2:3], v26, v26, v25
	v_mul_f32_e32 v27, v17, v27
	v_rcp_f32_e32 v29, v23
	v_fma_f32 v31, -v20, v30, 1.0
	v_fmac_f32_e32 v30, v31, v30
	v_mul_f32_e32 v31, v24, v30
	v_fma_f32 v33, -v23, v29, 1.0
	v_fmac_f32_e32 v29, v33, v29
	v_fma_f32 v33, -v20, v31, v24
	v_fmac_f32_e32 v31, v33, v30
	v_fma_f32 v20, -v20, v31, v24
	v_mul_f32_e32 v24, v28, v29
	v_div_fmas_f32 v20, v20, v30, v31
	v_fma_f32 v30, -v23, v24, v28
	v_fmac_f32_e32 v24, v30, v29
	v_fma_f32 v23, -v23, v24, v28
	s_mov_b64 vcc, s[0:1]
	v_div_fmas_f32 v23, v23, v29, v24
	v_mul_f32_e32 v29, v11, v16
	v_div_scale_f32 v28, vcc, v25, v26, v25
	s_waitcnt lgkmcnt(2)
	v_fma_f32 v29, v7, v14, -v29
	v_mul_f32_e32 v30, 0x40400000, v17
	v_mul_f32_e32 v29, v30, v29
	v_div_scale_f32 v30, s[0:1], v18, v18, v29
	v_div_scale_f32 v31, s[0:1], v29, v18, v29
	v_rcp_f32_e32 v24, v32
	v_mul_f32_e32 v33, v7, v7
	v_mul_f32_e32 v27, v7, v27
	v_fma_f32 v34, -v7, v16, v33
	v_mul_f32_e32 v27, v27, v16
	v_fmac_f32_e32 v34, v16, v16
	v_mul_f32_e32 v27, v34, v27
	v_mul_f32_e32 v34, v18, v26
	v_fma_f32 v36, -v32, v24, 1.0
	v_div_scale_f32 v35, s[2:3], v34, v34, v27
	v_fmac_f32_e32 v24, v36, v24
	v_mul_f32_e32 v36, v28, v24
	v_fma_f32 v37, -v32, v36, v28
	v_fmac_f32_e32 v36, v37, v24
	v_rcp_f32_e32 v37, v30
	v_fma_f32 v28, -v32, v36, v28
	v_div_fmas_f32 v24, v28, v24, v36
	v_mul_f32_e32 v33, v33, v14
	v_fma_f32 v28, -v30, v37, 1.0
	v_fmac_f32_e32 v37, v28, v37
	v_mul_f32_e32 v28, v31, v37
	v_fma_f32 v32, -v30, v28, v31
	v_fmac_f32_e32 v28, v32, v37
	v_div_scale_f32 v32, s[2:3], v27, v34, v27
	v_mul_f32_e32 v36, v16, v16
	v_fmac_f32_e32 v33, v11, v36
	v_mul_f32_e32 v21, 0x40c00000, v21
	v_mul_f32_e32 v21, v21, v33
	v_div_scale_f32 v33, s[4:5], v26, v26, v21
	v_fma_f32 v30, -v30, v28, v31
	v_rcp_f32_e32 v31, v35
	s_mov_b64 vcc, s[0:1]
	v_div_fmas_f32 v28, v30, v37, v28
	v_mul_f32_e32 v16, v12, v16
	v_fma_f32 v30, -v35, v31, 1.0
	v_fmac_f32_e32 v31, v30, v31
	v_div_scale_f32 v30, s[0:1], v21, v26, v21
	s_waitcnt lgkmcnt(1)
	v_fma_f32 v7, v7, v15, -v16
	v_mul_f32_e32 v16, 4.0, v17
	v_mul_f32_e32 v7, v16, v7
	v_div_scale_f32 v16, s[4:5], v18, v18, v7
	v_mul_f32_e32 v17, v32, v31
	v_fma_f32 v36, -v35, v17, v32
	v_fmac_f32_e32 v17, v36, v31
	v_div_scale_f32 v36, s[4:5], v7, v18, v7
	v_fma_f32 v32, -v35, v17, v32
	v_rcp_f32_e32 v35, v33
	s_mov_b64 vcc, s[2:3]
	v_div_fmas_f32 v17, v32, v31, v17
	v_add_f32_e32 v11, v11, v14
	v_fma_f32 v31, -v33, v35, 1.0
	v_fmac_f32_e32 v35, v31, v35
	v_mul_f32_e32 v31, v30, v35
	v_fma_f32 v32, -v33, v31, v30
	v_fmac_f32_e32 v31, v32, v35
	v_rcp_f32_e32 v32, v16
	v_add_f32_e32 v12, v12, v15
	v_fma_f32 v30, -v33, v31, v30
	s_mov_b64 vcc, s[0:1]
	v_fma_f32 v14, -v16, v32, 1.0
	v_fmac_f32_e32 v32, v14, v32
	v_mul_f32_e32 v14, v36, v32
	v_fma_f32 v15, -v16, v14, v36
	v_fmac_f32_e32 v14, v15, v32
	v_div_fmas_f32 v30, v30, v35, v31
	v_fma_f32 v15, -v16, v14, v36
	s_mov_b64 vcc, s[4:5]
	v_div_fmas_f32 v14, v15, v32, v14
	v_cmp_gt_f32_e32 vcc, v8, v6
	v_cndmask_b32_e32 v8, v8, v6, vcc
	v_cmp_lt_f32_e32 vcc, v9, v5
	v_cndmask_b32_e32 v9, v9, v5, vcc
	v_div_fixup_f32 v5, v20, v18, v19
	v_add_f32_e32 v10, v10, v5
	v_div_fixup_f32 v5, v23, v18, v22
	v_div_fixup_f32 v6, v24, v26, v25
	v_add_f32_e32 v5, v11, v5
	v_add_f32_e32 v6, v12, v6
	v_div_fixup_f32 v11, v28, v18, v29
	v_add_f32_e32 v12, v11, v6
	s_waitcnt lgkmcnt(0)
	v_add_f32_e32 v4, v13, v4
	v_div_fixup_f32 v11, v17, v34, v27
	v_add_f32_e32 v4, v4, v11
	v_div_fixup_f32 v11, v30, v26, v21
	v_add_f32_e32 v4, v11, v4
	v_div_fixup_f32 v7, v14, v18, v7
	v_add_f32_e32 v13, v7, v4
	v_mov_b32_e32 v11, v5
	v_mov_b32_e32 v7, v18
.LBB22_13:
	s_or_b64 exec, exec, s[8:9]
	v_cmp_gt_u32_e32 vcc, 62, v2
	s_waitcnt lgkmcnt(0)
	v_cndmask_b32_e64 v4, 0, 2, vcc
	v_add_lshl_u32 v4, v4, v1, 2
	ds_bpermute_b32 v14, v4, v7
	ds_bpermute_b32 v16, v4, v8
	;; [unrolled: 1-line block ×7, first 2 shown]
	v_add_u32_e32 v18, 2, v2
	v_cmp_lt_u32_e32 vcc, v18, v3
	s_and_saveexec_b64 s[4:5], vcc
	s_cbranch_execz .LBB22_15
; %bb.14:
	s_waitcnt lgkmcnt(3)
	v_sub_f32_e32 v17, v17, v10
	v_add_f32_e32 v18, v7, v14
	v_mul_f32_e32 v19, v17, v14
	v_div_scale_f32 v20, s[0:1], v18, v18, v19
	v_cmp_gt_f32_e64 s[0:1], v8, v16
	v_cndmask_b32_e64 v8, v8, v16, s[0:1]
	v_mul_f32_e32 v16, v17, v17
	v_div_scale_f32 v21, vcc, v19, v18, v19
	v_mul_f32_e32 v23, v7, v16
	v_cmp_lt_f32_e64 s[0:1], v9, v15
	v_mul_f32_e32 v23, v23, v14
	v_cndmask_b32_e64 v9, v9, v15, s[0:1]
	v_div_scale_f32 v25, s[0:1], v18, v18, v23
	v_div_scale_f32 v30, s[0:1], v23, v18, v23
	v_mul_f32_e32 v26, v17, v16
	v_rcp_f32_e32 v24, v20
	v_mul_f32_e32 v27, v17, v26
	v_mul_f32_e32 v26, v7, v26
	;; [unrolled: 1-line block ×3, first 2 shown]
	v_fma_f32 v28, -v20, v24, 1.0
	v_fmac_f32_e32 v24, v28, v24
	v_mul_f32_e32 v28, v21, v24
	v_fma_f32 v29, -v20, v28, v21
	v_fmac_f32_e32 v28, v29, v24
	v_sub_f32_e32 v31, v7, v14
	v_mul_f32_e32 v15, v18, v18
	v_rcp_f32_e32 v29, v25
	v_mul_f32_e32 v26, v31, v26
	v_fma_f32 v20, -v20, v28, v21
	v_div_scale_f32 v31, s[2:3], v15, v15, v26
	v_fma_f32 v21, -v25, v29, 1.0
	v_fmac_f32_e32 v29, v21, v29
	v_div_fmas_f32 v20, v20, v24, v28
	v_mul_f32_e32 v24, v30, v29
	v_fma_f32 v28, -v25, v24, v30
	v_fmac_f32_e32 v24, v28, v29
	v_fma_f32 v25, -v25, v24, v30
	s_mov_b64 vcc, s[0:1]
	v_div_fmas_f32 v24, v25, v29, v24
	v_mul_f32_e32 v29, v11, v14
	v_div_scale_f32 v21, s[2:3], v26, v15, v26
	v_mul_f32_e32 v28, 0x40400000, v17
	s_waitcnt lgkmcnt(2)
	v_fma_f32 v29, v7, v6, -v29
	v_mul_f32_e32 v28, v28, v29
	v_div_scale_f32 v29, s[0:1], v18, v18, v28
	v_div_scale_f32 v32, s[0:1], v28, v18, v28
	v_rcp_f32_e32 v25, v31
	v_mul_f32_e32 v33, v7, v7
	v_mul_f32_e32 v27, v7, v27
	v_fma_f32 v34, -v7, v14, v33
	v_fma_f32 v30, -v31, v25, 1.0
	v_fmac_f32_e32 v25, v30, v25
	v_mul_f32_e32 v27, v27, v14
	v_mul_f32_e32 v30, v21, v25
	v_fma_f32 v35, -v31, v30, v21
	v_fmac_f32_e32 v30, v35, v25
	v_fmac_f32_e32 v34, v14, v14
	v_mul_f32_e32 v22, v18, v15
	v_rcp_f32_e32 v35, v29
	v_mul_f32_e32 v27, v34, v27
	v_fma_f32 v21, -v31, v30, v21
	s_mov_b64 vcc, s[2:3]
	v_div_scale_f32 v34, s[8:9], v22, v22, v27
	v_div_fmas_f32 v21, v21, v25, v30
	v_fma_f32 v25, -v29, v35, 1.0
	v_fmac_f32_e32 v35, v25, v35
	v_mul_f32_e32 v25, v32, v35
	v_fma_f32 v30, -v29, v25, v32
	v_fmac_f32_e32 v25, v30, v35
	v_fma_f32 v29, -v29, v25, v32
	s_mov_b64 vcc, s[0:1]
	v_div_fmas_f32 v25, v29, v35, v25
	v_div_scale_f32 v31, vcc, v27, v22, v27
	v_mul_f32_e32 v29, v14, v14
	v_mul_f32_e32 v32, v33, v6
	;; [unrolled: 1-line block ×3, first 2 shown]
	v_fmac_f32_e32 v32, v11, v29
	v_mul_f32_e32 v16, v16, v32
	v_div_scale_f32 v29, s[0:1], v15, v15, v16
	v_mul_f32_e32 v14, v12, v14
	v_rcp_f32_e32 v30, v34
	v_div_scale_f32 v33, s[0:1], v16, v15, v16
	v_mul_f32_e32 v17, 4.0, v17
	s_waitcnt lgkmcnt(1)
	v_fma_f32 v7, v7, v5, -v14
	v_mul_f32_e32 v7, v17, v7
	v_div_scale_f32 v14, s[2:3], v18, v18, v7
	v_fma_f32 v32, -v34, v30, 1.0
	v_fmac_f32_e32 v30, v32, v30
	v_mul_f32_e32 v17, v31, v30
	v_fma_f32 v32, -v34, v17, v31
	v_fmac_f32_e32 v17, v32, v30
	v_div_scale_f32 v32, s[2:3], v7, v18, v7
	v_rcp_f32_e32 v35, v29
	v_fma_f32 v31, -v34, v17, v31
	v_div_fmas_f32 v17, v31, v30, v17
	s_mov_b64 vcc, s[0:1]
	v_fma_f32 v30, -v29, v35, 1.0
	v_fmac_f32_e32 v35, v30, v35
	v_mul_f32_e32 v30, v33, v35
	v_fma_f32 v31, -v29, v30, v33
	v_fmac_f32_e32 v30, v31, v35
	v_rcp_f32_e32 v31, v14
	v_fma_f32 v29, -v29, v30, v33
	v_div_fmas_f32 v29, v29, v35, v30
	s_mov_b64 vcc, s[2:3]
	v_fma_f32 v30, -v14, v31, 1.0
	v_fmac_f32_e32 v31, v30, v31
	v_mul_f32_e32 v30, v32, v31
	v_fma_f32 v33, -v14, v30, v32
	v_fmac_f32_e32 v30, v33, v31
	v_fma_f32 v14, -v14, v30, v32
	v_div_fmas_f32 v14, v14, v31, v30
	v_add_f32_e32 v6, v11, v6
	v_div_fixup_f32 v11, v24, v18, v23
	v_add_f32_e32 v6, v6, v11
	v_add_f32_e32 v5, v12, v5
	v_div_fixup_f32 v11, v21, v15, v26
	v_add_f32_e32 v5, v5, v11
	v_div_fixup_f32 v11, v25, v18, v28
	v_add_f32_e32 v12, v11, v5
	s_waitcnt lgkmcnt(0)
	v_add_f32_e32 v4, v13, v4
	v_div_fixup_f32 v11, v17, v22, v27
	v_add_f32_e32 v4, v4, v11
	v_div_fixup_f32 v11, v29, v15, v16
	v_div_fixup_f32 v19, v20, v18, v19
	v_add_f32_e32 v4, v11, v4
	v_add_f32_e32 v10, v10, v19
	v_div_fixup_f32 v7, v14, v18, v7
	v_add_f32_e32 v13, v7, v4
	v_mov_b32_e32 v11, v6
	v_mov_b32_e32 v7, v18
.LBB22_15:
	s_or_b64 exec, exec, s[4:5]
	v_cmp_gt_u32_e32 vcc, 60, v2
	s_waitcnt lgkmcnt(0)
	v_cndmask_b32_e64 v4, 0, 4, vcc
	v_add_lshl_u32 v4, v4, v1, 2
	ds_bpermute_b32 v14, v4, v7
	ds_bpermute_b32 v16, v4, v8
	;; [unrolled: 1-line block ×7, first 2 shown]
	v_add_u32_e32 v18, 4, v2
	v_cmp_lt_u32_e32 vcc, v18, v3
	s_and_saveexec_b64 s[4:5], vcc
	s_cbranch_execz .LBB22_17
; %bb.16:
	s_waitcnt lgkmcnt(3)
	v_sub_f32_e32 v17, v17, v10
	v_add_f32_e32 v18, v7, v14
	v_mul_f32_e32 v19, v17, v14
	v_div_scale_f32 v20, s[0:1], v18, v18, v19
	v_cmp_gt_f32_e64 s[0:1], v8, v16
	v_cndmask_b32_e64 v8, v8, v16, s[0:1]
	v_mul_f32_e32 v16, v17, v17
	v_div_scale_f32 v21, vcc, v19, v18, v19
	v_mul_f32_e32 v23, v7, v16
	v_cmp_lt_f32_e64 s[0:1], v9, v15
	v_mul_f32_e32 v23, v23, v14
	v_cndmask_b32_e64 v9, v9, v15, s[0:1]
	v_div_scale_f32 v25, s[0:1], v18, v18, v23
	v_div_scale_f32 v30, s[0:1], v23, v18, v23
	v_mul_f32_e32 v26, v17, v16
	v_rcp_f32_e32 v24, v20
	v_mul_f32_e32 v27, v17, v26
	v_mul_f32_e32 v26, v7, v26
	;; [unrolled: 1-line block ×3, first 2 shown]
	v_fma_f32 v28, -v20, v24, 1.0
	v_fmac_f32_e32 v24, v28, v24
	v_mul_f32_e32 v28, v21, v24
	v_fma_f32 v29, -v20, v28, v21
	v_fmac_f32_e32 v28, v29, v24
	v_sub_f32_e32 v31, v7, v14
	v_mul_f32_e32 v15, v18, v18
	v_rcp_f32_e32 v29, v25
	v_mul_f32_e32 v26, v31, v26
	v_fma_f32 v20, -v20, v28, v21
	v_div_scale_f32 v31, s[2:3], v15, v15, v26
	v_fma_f32 v21, -v25, v29, 1.0
	v_fmac_f32_e32 v29, v21, v29
	v_div_fmas_f32 v20, v20, v24, v28
	v_mul_f32_e32 v24, v30, v29
	v_fma_f32 v28, -v25, v24, v30
	v_fmac_f32_e32 v24, v28, v29
	v_fma_f32 v25, -v25, v24, v30
	s_mov_b64 vcc, s[0:1]
	v_div_fmas_f32 v24, v25, v29, v24
	v_mul_f32_e32 v29, v11, v14
	v_div_scale_f32 v21, s[2:3], v26, v15, v26
	v_mul_f32_e32 v28, 0x40400000, v17
	s_waitcnt lgkmcnt(2)
	v_fma_f32 v29, v7, v6, -v29
	v_mul_f32_e32 v28, v28, v29
	v_div_scale_f32 v29, s[0:1], v18, v18, v28
	v_div_scale_f32 v32, s[0:1], v28, v18, v28
	v_rcp_f32_e32 v25, v31
	v_mul_f32_e32 v33, v7, v7
	v_mul_f32_e32 v27, v7, v27
	v_fma_f32 v34, -v7, v14, v33
	v_fma_f32 v30, -v31, v25, 1.0
	v_fmac_f32_e32 v25, v30, v25
	v_mul_f32_e32 v27, v27, v14
	v_mul_f32_e32 v30, v21, v25
	v_fma_f32 v35, -v31, v30, v21
	v_fmac_f32_e32 v30, v35, v25
	v_fmac_f32_e32 v34, v14, v14
	v_mul_f32_e32 v22, v18, v15
	v_rcp_f32_e32 v35, v29
	v_mul_f32_e32 v27, v34, v27
	v_fma_f32 v21, -v31, v30, v21
	s_mov_b64 vcc, s[2:3]
	v_div_scale_f32 v34, s[8:9], v22, v22, v27
	v_div_fmas_f32 v21, v21, v25, v30
	v_fma_f32 v25, -v29, v35, 1.0
	v_fmac_f32_e32 v35, v25, v35
	v_mul_f32_e32 v25, v32, v35
	v_fma_f32 v30, -v29, v25, v32
	v_fmac_f32_e32 v25, v30, v35
	v_fma_f32 v29, -v29, v25, v32
	s_mov_b64 vcc, s[0:1]
	v_div_fmas_f32 v25, v29, v35, v25
	v_div_scale_f32 v31, vcc, v27, v22, v27
	v_mul_f32_e32 v29, v14, v14
	v_mul_f32_e32 v32, v33, v6
	;; [unrolled: 1-line block ×3, first 2 shown]
	v_fmac_f32_e32 v32, v11, v29
	v_mul_f32_e32 v16, v16, v32
	v_div_scale_f32 v29, s[0:1], v15, v15, v16
	v_mul_f32_e32 v14, v12, v14
	v_rcp_f32_e32 v30, v34
	v_div_scale_f32 v33, s[0:1], v16, v15, v16
	v_mul_f32_e32 v17, 4.0, v17
	s_waitcnt lgkmcnt(1)
	v_fma_f32 v7, v7, v5, -v14
	v_mul_f32_e32 v7, v17, v7
	v_div_scale_f32 v14, s[2:3], v18, v18, v7
	v_fma_f32 v32, -v34, v30, 1.0
	v_fmac_f32_e32 v30, v32, v30
	v_mul_f32_e32 v17, v31, v30
	v_fma_f32 v32, -v34, v17, v31
	v_fmac_f32_e32 v17, v32, v30
	v_div_scale_f32 v32, s[2:3], v7, v18, v7
	v_rcp_f32_e32 v35, v29
	v_fma_f32 v31, -v34, v17, v31
	v_div_fmas_f32 v17, v31, v30, v17
	s_mov_b64 vcc, s[0:1]
	v_fma_f32 v30, -v29, v35, 1.0
	v_fmac_f32_e32 v35, v30, v35
	v_mul_f32_e32 v30, v33, v35
	v_fma_f32 v31, -v29, v30, v33
	v_fmac_f32_e32 v30, v31, v35
	v_rcp_f32_e32 v31, v14
	v_fma_f32 v29, -v29, v30, v33
	v_div_fmas_f32 v29, v29, v35, v30
	s_mov_b64 vcc, s[2:3]
	v_fma_f32 v30, -v14, v31, 1.0
	v_fmac_f32_e32 v31, v30, v31
	v_mul_f32_e32 v30, v32, v31
	v_fma_f32 v33, -v14, v30, v32
	v_fmac_f32_e32 v30, v33, v31
	v_fma_f32 v14, -v14, v30, v32
	v_div_fmas_f32 v14, v14, v31, v30
	v_add_f32_e32 v6, v11, v6
	v_div_fixup_f32 v11, v24, v18, v23
	v_add_f32_e32 v6, v6, v11
	v_add_f32_e32 v5, v12, v5
	v_div_fixup_f32 v11, v21, v15, v26
	v_add_f32_e32 v5, v5, v11
	v_div_fixup_f32 v11, v25, v18, v28
	v_add_f32_e32 v12, v11, v5
	s_waitcnt lgkmcnt(0)
	v_add_f32_e32 v4, v13, v4
	v_div_fixup_f32 v11, v17, v22, v27
	v_add_f32_e32 v4, v4, v11
	v_div_fixup_f32 v11, v29, v15, v16
	v_div_fixup_f32 v19, v20, v18, v19
	v_add_f32_e32 v4, v11, v4
	v_add_f32_e32 v10, v10, v19
	v_div_fixup_f32 v7, v14, v18, v7
	v_add_f32_e32 v13, v7, v4
	v_mov_b32_e32 v11, v6
	v_mov_b32_e32 v7, v18
.LBB22_17:
	s_or_b64 exec, exec, s[4:5]
	v_cmp_gt_u32_e32 vcc, 56, v2
	s_waitcnt lgkmcnt(0)
	v_cndmask_b32_e64 v4, 0, 8, vcc
	v_add_lshl_u32 v4, v4, v1, 2
	ds_bpermute_b32 v14, v4, v7
	ds_bpermute_b32 v16, v4, v8
	;; [unrolled: 1-line block ×7, first 2 shown]
	v_add_u32_e32 v18, 8, v2
	v_cmp_lt_u32_e32 vcc, v18, v3
	s_and_saveexec_b64 s[4:5], vcc
	s_cbranch_execz .LBB22_19
; %bb.18:
	s_waitcnt lgkmcnt(3)
	v_sub_f32_e32 v17, v17, v10
	v_add_f32_e32 v18, v7, v14
	v_mul_f32_e32 v19, v17, v14
	v_div_scale_f32 v20, s[0:1], v18, v18, v19
	v_cmp_gt_f32_e64 s[0:1], v8, v16
	v_cndmask_b32_e64 v8, v8, v16, s[0:1]
	v_mul_f32_e32 v16, v17, v17
	v_div_scale_f32 v21, vcc, v19, v18, v19
	v_mul_f32_e32 v23, v7, v16
	v_cmp_lt_f32_e64 s[0:1], v9, v15
	v_mul_f32_e32 v23, v23, v14
	v_cndmask_b32_e64 v9, v9, v15, s[0:1]
	v_div_scale_f32 v25, s[0:1], v18, v18, v23
	v_div_scale_f32 v30, s[0:1], v23, v18, v23
	v_mul_f32_e32 v26, v17, v16
	v_rcp_f32_e32 v24, v20
	v_mul_f32_e32 v27, v17, v26
	v_mul_f32_e32 v26, v7, v26
	;; [unrolled: 1-line block ×3, first 2 shown]
	v_fma_f32 v28, -v20, v24, 1.0
	v_fmac_f32_e32 v24, v28, v24
	v_mul_f32_e32 v28, v21, v24
	v_fma_f32 v29, -v20, v28, v21
	v_fmac_f32_e32 v28, v29, v24
	v_sub_f32_e32 v31, v7, v14
	v_mul_f32_e32 v15, v18, v18
	v_rcp_f32_e32 v29, v25
	v_mul_f32_e32 v26, v31, v26
	v_fma_f32 v20, -v20, v28, v21
	v_div_scale_f32 v31, s[2:3], v15, v15, v26
	v_fma_f32 v21, -v25, v29, 1.0
	v_fmac_f32_e32 v29, v21, v29
	v_div_fmas_f32 v20, v20, v24, v28
	v_mul_f32_e32 v24, v30, v29
	v_fma_f32 v28, -v25, v24, v30
	v_fmac_f32_e32 v24, v28, v29
	v_fma_f32 v25, -v25, v24, v30
	s_mov_b64 vcc, s[0:1]
	v_div_fmas_f32 v24, v25, v29, v24
	v_mul_f32_e32 v29, v11, v14
	v_div_scale_f32 v21, s[2:3], v26, v15, v26
	v_mul_f32_e32 v28, 0x40400000, v17
	s_waitcnt lgkmcnt(2)
	v_fma_f32 v29, v7, v6, -v29
	v_mul_f32_e32 v28, v28, v29
	v_div_scale_f32 v29, s[0:1], v18, v18, v28
	v_div_scale_f32 v32, s[0:1], v28, v18, v28
	v_rcp_f32_e32 v25, v31
	v_mul_f32_e32 v33, v7, v7
	v_mul_f32_e32 v27, v7, v27
	v_fma_f32 v34, -v7, v14, v33
	v_fma_f32 v30, -v31, v25, 1.0
	v_fmac_f32_e32 v25, v30, v25
	v_mul_f32_e32 v27, v27, v14
	v_mul_f32_e32 v30, v21, v25
	v_fma_f32 v35, -v31, v30, v21
	v_fmac_f32_e32 v30, v35, v25
	v_fmac_f32_e32 v34, v14, v14
	v_mul_f32_e32 v22, v18, v15
	v_rcp_f32_e32 v35, v29
	v_mul_f32_e32 v27, v34, v27
	v_fma_f32 v21, -v31, v30, v21
	s_mov_b64 vcc, s[2:3]
	v_div_scale_f32 v34, s[8:9], v22, v22, v27
	v_div_fmas_f32 v21, v21, v25, v30
	v_fma_f32 v25, -v29, v35, 1.0
	v_fmac_f32_e32 v35, v25, v35
	v_mul_f32_e32 v25, v32, v35
	v_fma_f32 v30, -v29, v25, v32
	v_fmac_f32_e32 v25, v30, v35
	v_fma_f32 v29, -v29, v25, v32
	s_mov_b64 vcc, s[0:1]
	v_div_fmas_f32 v25, v29, v35, v25
	v_div_scale_f32 v31, vcc, v27, v22, v27
	v_mul_f32_e32 v29, v14, v14
	v_mul_f32_e32 v32, v33, v6
	;; [unrolled: 1-line block ×3, first 2 shown]
	v_fmac_f32_e32 v32, v11, v29
	v_mul_f32_e32 v16, v16, v32
	v_div_scale_f32 v29, s[0:1], v15, v15, v16
	v_mul_f32_e32 v14, v12, v14
	v_rcp_f32_e32 v30, v34
	v_div_scale_f32 v33, s[0:1], v16, v15, v16
	v_mul_f32_e32 v17, 4.0, v17
	s_waitcnt lgkmcnt(1)
	v_fma_f32 v7, v7, v5, -v14
	v_mul_f32_e32 v7, v17, v7
	v_div_scale_f32 v14, s[2:3], v18, v18, v7
	v_fma_f32 v32, -v34, v30, 1.0
	v_fmac_f32_e32 v30, v32, v30
	v_mul_f32_e32 v17, v31, v30
	v_fma_f32 v32, -v34, v17, v31
	v_fmac_f32_e32 v17, v32, v30
	v_div_scale_f32 v32, s[2:3], v7, v18, v7
	v_rcp_f32_e32 v35, v29
	v_fma_f32 v31, -v34, v17, v31
	v_div_fmas_f32 v17, v31, v30, v17
	s_mov_b64 vcc, s[0:1]
	v_fma_f32 v30, -v29, v35, 1.0
	v_fmac_f32_e32 v35, v30, v35
	v_mul_f32_e32 v30, v33, v35
	v_fma_f32 v31, -v29, v30, v33
	v_fmac_f32_e32 v30, v31, v35
	v_rcp_f32_e32 v31, v14
	v_fma_f32 v29, -v29, v30, v33
	v_div_fmas_f32 v29, v29, v35, v30
	s_mov_b64 vcc, s[2:3]
	v_fma_f32 v30, -v14, v31, 1.0
	v_fmac_f32_e32 v31, v30, v31
	v_mul_f32_e32 v30, v32, v31
	v_fma_f32 v33, -v14, v30, v32
	v_fmac_f32_e32 v30, v33, v31
	v_fma_f32 v14, -v14, v30, v32
	v_div_fmas_f32 v14, v14, v31, v30
	v_add_f32_e32 v6, v11, v6
	v_div_fixup_f32 v11, v24, v18, v23
	v_add_f32_e32 v6, v6, v11
	v_add_f32_e32 v5, v12, v5
	v_div_fixup_f32 v11, v21, v15, v26
	v_add_f32_e32 v5, v5, v11
	v_div_fixup_f32 v11, v25, v18, v28
	v_add_f32_e32 v12, v11, v5
	s_waitcnt lgkmcnt(0)
	v_add_f32_e32 v4, v13, v4
	v_div_fixup_f32 v11, v17, v22, v27
	v_add_f32_e32 v4, v4, v11
	v_div_fixup_f32 v11, v29, v15, v16
	v_div_fixup_f32 v19, v20, v18, v19
	v_add_f32_e32 v4, v11, v4
	v_add_f32_e32 v10, v10, v19
	v_div_fixup_f32 v7, v14, v18, v7
	v_add_f32_e32 v13, v7, v4
	v_mov_b32_e32 v11, v6
	v_mov_b32_e32 v7, v18
.LBB22_19:
	s_or_b64 exec, exec, s[4:5]
	v_cmp_gt_u32_e32 vcc, 48, v2
	s_waitcnt lgkmcnt(0)
	v_cndmask_b32_e64 v4, 0, 16, vcc
	v_add_lshl_u32 v4, v4, v1, 2
	ds_bpermute_b32 v14, v4, v7
	ds_bpermute_b32 v16, v4, v8
	;; [unrolled: 1-line block ×7, first 2 shown]
	v_add_u32_e32 v18, 16, v2
	v_cmp_lt_u32_e32 vcc, v18, v3
	s_and_saveexec_b64 s[4:5], vcc
	s_cbranch_execz .LBB22_21
; %bb.20:
	s_waitcnt lgkmcnt(3)
	v_sub_f32_e32 v17, v17, v10
	v_add_f32_e32 v18, v7, v14
	v_mul_f32_e32 v19, v17, v14
	v_div_scale_f32 v20, s[0:1], v18, v18, v19
	v_cmp_gt_f32_e64 s[0:1], v8, v16
	v_cndmask_b32_e64 v8, v8, v16, s[0:1]
	v_mul_f32_e32 v16, v17, v17
	v_div_scale_f32 v21, vcc, v19, v18, v19
	v_mul_f32_e32 v23, v7, v16
	v_cmp_lt_f32_e64 s[0:1], v9, v15
	v_mul_f32_e32 v23, v23, v14
	v_cndmask_b32_e64 v9, v9, v15, s[0:1]
	v_div_scale_f32 v25, s[0:1], v18, v18, v23
	v_div_scale_f32 v30, s[0:1], v23, v18, v23
	v_mul_f32_e32 v26, v17, v16
	v_rcp_f32_e32 v24, v20
	v_mul_f32_e32 v27, v17, v26
	v_mul_f32_e32 v26, v7, v26
	;; [unrolled: 1-line block ×3, first 2 shown]
	v_fma_f32 v28, -v20, v24, 1.0
	v_fmac_f32_e32 v24, v28, v24
	v_mul_f32_e32 v28, v21, v24
	v_fma_f32 v29, -v20, v28, v21
	v_fmac_f32_e32 v28, v29, v24
	v_sub_f32_e32 v31, v7, v14
	v_mul_f32_e32 v15, v18, v18
	v_rcp_f32_e32 v29, v25
	v_mul_f32_e32 v26, v31, v26
	v_fma_f32 v20, -v20, v28, v21
	v_div_scale_f32 v31, s[2:3], v15, v15, v26
	v_fma_f32 v21, -v25, v29, 1.0
	v_fmac_f32_e32 v29, v21, v29
	v_div_fmas_f32 v20, v20, v24, v28
	v_mul_f32_e32 v24, v30, v29
	v_fma_f32 v28, -v25, v24, v30
	v_fmac_f32_e32 v24, v28, v29
	v_fma_f32 v25, -v25, v24, v30
	s_mov_b64 vcc, s[0:1]
	v_div_fmas_f32 v24, v25, v29, v24
	v_mul_f32_e32 v29, v11, v14
	v_div_scale_f32 v21, s[2:3], v26, v15, v26
	v_mul_f32_e32 v28, 0x40400000, v17
	s_waitcnt lgkmcnt(2)
	v_fma_f32 v29, v7, v6, -v29
	v_mul_f32_e32 v28, v28, v29
	v_div_scale_f32 v29, s[0:1], v18, v18, v28
	v_div_scale_f32 v32, s[0:1], v28, v18, v28
	v_rcp_f32_e32 v25, v31
	v_mul_f32_e32 v33, v7, v7
	v_mul_f32_e32 v27, v7, v27
	v_fma_f32 v34, -v7, v14, v33
	v_fma_f32 v30, -v31, v25, 1.0
	v_fmac_f32_e32 v25, v30, v25
	v_mul_f32_e32 v27, v27, v14
	v_mul_f32_e32 v30, v21, v25
	v_fma_f32 v35, -v31, v30, v21
	v_fmac_f32_e32 v30, v35, v25
	v_fmac_f32_e32 v34, v14, v14
	v_mul_f32_e32 v22, v18, v15
	v_rcp_f32_e32 v35, v29
	v_mul_f32_e32 v27, v34, v27
	v_fma_f32 v21, -v31, v30, v21
	s_mov_b64 vcc, s[2:3]
	v_div_scale_f32 v34, s[8:9], v22, v22, v27
	v_div_fmas_f32 v21, v21, v25, v30
	v_fma_f32 v25, -v29, v35, 1.0
	v_fmac_f32_e32 v35, v25, v35
	v_mul_f32_e32 v25, v32, v35
	v_fma_f32 v30, -v29, v25, v32
	v_fmac_f32_e32 v25, v30, v35
	v_fma_f32 v29, -v29, v25, v32
	s_mov_b64 vcc, s[0:1]
	v_div_fmas_f32 v25, v29, v35, v25
	v_div_scale_f32 v31, vcc, v27, v22, v27
	v_mul_f32_e32 v29, v14, v14
	v_mul_f32_e32 v32, v33, v6
	;; [unrolled: 1-line block ×3, first 2 shown]
	v_fmac_f32_e32 v32, v11, v29
	v_mul_f32_e32 v16, v16, v32
	v_div_scale_f32 v29, s[0:1], v15, v15, v16
	v_mul_f32_e32 v14, v12, v14
	v_rcp_f32_e32 v30, v34
	v_div_scale_f32 v33, s[0:1], v16, v15, v16
	v_mul_f32_e32 v17, 4.0, v17
	s_waitcnt lgkmcnt(1)
	v_fma_f32 v7, v7, v5, -v14
	v_mul_f32_e32 v7, v17, v7
	v_div_scale_f32 v14, s[2:3], v18, v18, v7
	v_fma_f32 v32, -v34, v30, 1.0
	v_fmac_f32_e32 v30, v32, v30
	v_mul_f32_e32 v17, v31, v30
	v_fma_f32 v32, -v34, v17, v31
	v_fmac_f32_e32 v17, v32, v30
	v_div_scale_f32 v32, s[2:3], v7, v18, v7
	v_rcp_f32_e32 v35, v29
	v_fma_f32 v31, -v34, v17, v31
	v_div_fmas_f32 v17, v31, v30, v17
	s_mov_b64 vcc, s[0:1]
	v_fma_f32 v30, -v29, v35, 1.0
	v_fmac_f32_e32 v35, v30, v35
	v_mul_f32_e32 v30, v33, v35
	v_fma_f32 v31, -v29, v30, v33
	v_fmac_f32_e32 v30, v31, v35
	v_rcp_f32_e32 v31, v14
	v_fma_f32 v29, -v29, v30, v33
	v_div_fmas_f32 v29, v29, v35, v30
	s_mov_b64 vcc, s[2:3]
	v_fma_f32 v30, -v14, v31, 1.0
	v_fmac_f32_e32 v31, v30, v31
	v_mul_f32_e32 v30, v32, v31
	v_fma_f32 v33, -v14, v30, v32
	v_fmac_f32_e32 v30, v33, v31
	v_fma_f32 v14, -v14, v30, v32
	v_div_fmas_f32 v14, v14, v31, v30
	v_add_f32_e32 v6, v11, v6
	v_div_fixup_f32 v11, v24, v18, v23
	v_add_f32_e32 v6, v6, v11
	v_add_f32_e32 v5, v12, v5
	v_div_fixup_f32 v11, v21, v15, v26
	v_add_f32_e32 v5, v5, v11
	v_div_fixup_f32 v11, v25, v18, v28
	v_add_f32_e32 v12, v11, v5
	s_waitcnt lgkmcnt(0)
	v_add_f32_e32 v4, v13, v4
	v_div_fixup_f32 v11, v17, v22, v27
	v_add_f32_e32 v4, v4, v11
	v_div_fixup_f32 v11, v29, v15, v16
	v_div_fixup_f32 v19, v20, v18, v19
	v_add_f32_e32 v4, v11, v4
	v_add_f32_e32 v10, v10, v19
	v_div_fixup_f32 v7, v14, v18, v7
	v_add_f32_e32 v13, v7, v4
	v_mov_b32_e32 v11, v6
	v_mov_b32_e32 v7, v18
.LBB22_21:
	s_or_b64 exec, exec, s[4:5]
	s_waitcnt lgkmcnt(0)
	v_lshlrev_b32_e32 v4, 2, v1
	v_or_b32_e32 v5, 0x80, v4
	ds_bpermute_b32 v15, v5, v7
	ds_bpermute_b32 v17, v5, v8
	;; [unrolled: 1-line block ×7, first 2 shown]
	v_add_u32_e32 v2, 32, v2
	v_cmp_lt_u32_e32 vcc, v2, v3
	s_and_saveexec_b64 s[4:5], vcc
	s_cbranch_execz .LBB22_23
; %bb.22:
	s_waitcnt lgkmcnt(3)
	v_sub_f32_e32 v3, v18, v10
	v_add_f32_e32 v2, v7, v15
	v_mul_f32_e32 v18, v3, v15
	v_div_scale_f32 v19, s[0:1], v2, v2, v18
	v_cmp_gt_f32_e64 s[0:1], v8, v17
	v_cndmask_b32_e64 v8, v8, v17, s[0:1]
	v_mul_f32_e32 v17, v3, v3
	v_div_scale_f32 v20, vcc, v18, v2, v18
	v_mul_f32_e32 v22, v7, v17
	v_cmp_lt_f32_e64 s[0:1], v9, v16
	v_mul_f32_e32 v22, v22, v15
	v_cndmask_b32_e64 v9, v9, v16, s[0:1]
	v_div_scale_f32 v24, s[0:1], v2, v2, v22
	v_div_scale_f32 v29, s[0:1], v22, v2, v22
	v_mul_f32_e32 v25, v3, v17
	v_rcp_f32_e32 v23, v19
	v_mul_f32_e32 v26, v3, v25
	v_mul_f32_e32 v25, v7, v25
	;; [unrolled: 1-line block ×3, first 2 shown]
	v_fma_f32 v27, -v19, v23, 1.0
	v_fmac_f32_e32 v23, v27, v23
	v_mul_f32_e32 v27, v20, v23
	v_fma_f32 v28, -v19, v27, v20
	v_fmac_f32_e32 v27, v28, v23
	v_sub_f32_e32 v30, v7, v15
	v_mul_f32_e32 v16, v2, v2
	v_rcp_f32_e32 v28, v24
	v_mul_f32_e32 v25, v30, v25
	v_fma_f32 v19, -v19, v27, v20
	v_div_scale_f32 v30, s[2:3], v16, v16, v25
	v_fma_f32 v20, -v24, v28, 1.0
	v_fmac_f32_e32 v28, v20, v28
	v_div_fmas_f32 v19, v19, v23, v27
	v_mul_f32_e32 v23, v29, v28
	v_fma_f32 v27, -v24, v23, v29
	v_fmac_f32_e32 v23, v27, v28
	v_fma_f32 v24, -v24, v23, v29
	s_mov_b64 vcc, s[0:1]
	v_div_fmas_f32 v23, v24, v28, v23
	v_mul_f32_e32 v28, v11, v15
	v_div_scale_f32 v20, s[2:3], v25, v16, v25
	v_mul_f32_e32 v27, 0x40400000, v3
	s_waitcnt lgkmcnt(2)
	v_fma_f32 v28, v7, v14, -v28
	v_mul_f32_e32 v27, v27, v28
	v_div_scale_f32 v28, s[0:1], v2, v2, v27
	v_div_scale_f32 v31, s[0:1], v27, v2, v27
	v_rcp_f32_e32 v24, v30
	v_mul_f32_e32 v32, v7, v7
	v_mul_f32_e32 v26, v7, v26
	v_fma_f32 v33, -v7, v15, v32
	v_fma_f32 v29, -v30, v24, 1.0
	v_fmac_f32_e32 v24, v29, v24
	v_mul_f32_e32 v26, v26, v15
	v_mul_f32_e32 v29, v20, v24
	v_fma_f32 v34, -v30, v29, v20
	v_fmac_f32_e32 v29, v34, v24
	v_fmac_f32_e32 v33, v15, v15
	v_mul_f32_e32 v21, v2, v16
	v_rcp_f32_e32 v34, v28
	v_mul_f32_e32 v26, v33, v26
	v_fma_f32 v20, -v30, v29, v20
	s_mov_b64 vcc, s[2:3]
	v_div_scale_f32 v33, s[8:9], v21, v21, v26
	v_div_fmas_f32 v20, v20, v24, v29
	v_fma_f32 v24, -v28, v34, 1.0
	v_fmac_f32_e32 v34, v24, v34
	v_mul_f32_e32 v24, v31, v34
	v_fma_f32 v29, -v28, v24, v31
	v_fmac_f32_e32 v24, v29, v34
	v_fma_f32 v28, -v28, v24, v31
	s_mov_b64 vcc, s[0:1]
	v_div_fmas_f32 v24, v28, v34, v24
	v_div_scale_f32 v30, vcc, v26, v21, v26
	v_mul_f32_e32 v28, v15, v15
	v_mul_f32_e32 v31, v32, v14
	;; [unrolled: 1-line block ×3, first 2 shown]
	v_fmac_f32_e32 v31, v11, v28
	v_mul_f32_e32 v17, v17, v31
	v_div_scale_f32 v28, s[0:1], v16, v16, v17
	v_mul_f32_e32 v15, v12, v15
	v_rcp_f32_e32 v29, v33
	v_div_scale_f32 v32, s[0:1], v17, v16, v17
	v_mul_f32_e32 v3, 4.0, v3
	s_waitcnt lgkmcnt(1)
	v_fma_f32 v7, v7, v6, -v15
	v_mul_f32_e32 v3, v3, v7
	v_div_scale_f32 v7, s[2:3], v2, v2, v3
	v_fma_f32 v31, -v33, v29, 1.0
	v_fmac_f32_e32 v29, v31, v29
	v_mul_f32_e32 v15, v30, v29
	v_fma_f32 v31, -v33, v15, v30
	v_fmac_f32_e32 v15, v31, v29
	v_div_scale_f32 v31, s[2:3], v3, v2, v3
	v_rcp_f32_e32 v34, v28
	v_fma_f32 v30, -v33, v15, v30
	v_div_fmas_f32 v15, v30, v29, v15
	s_mov_b64 vcc, s[0:1]
	v_fma_f32 v29, -v28, v34, 1.0
	v_fmac_f32_e32 v34, v29, v34
	v_mul_f32_e32 v29, v32, v34
	v_fma_f32 v30, -v28, v29, v32
	v_fmac_f32_e32 v29, v30, v34
	v_rcp_f32_e32 v30, v7
	v_fma_f32 v28, -v28, v29, v32
	v_div_fmas_f32 v28, v28, v34, v29
	s_mov_b64 vcc, s[2:3]
	v_fma_f32 v29, -v7, v30, 1.0
	v_fmac_f32_e32 v30, v29, v30
	v_mul_f32_e32 v29, v31, v30
	v_fma_f32 v32, -v7, v29, v31
	v_fmac_f32_e32 v29, v32, v30
	v_fma_f32 v7, -v7, v29, v31
	v_div_fmas_f32 v7, v7, v30, v29
	v_add_f32_e32 v6, v12, v6
	v_div_fixup_f32 v12, v20, v16, v25
	v_add_f32_e32 v6, v6, v12
	v_div_fixup_f32 v12, v24, v2, v27
	v_add_f32_e32 v6, v12, v6
	s_waitcnt lgkmcnt(0)
	v_add_f32_e32 v5, v13, v5
	v_div_fixup_f32 v12, v15, v21, v26
	v_add_f32_e32 v5, v5, v12
	v_div_fixup_f32 v12, v28, v16, v17
	v_div_fixup_f32 v18, v19, v2, v18
	v_add_f32_e32 v11, v11, v14
	v_div_fixup_f32 v14, v23, v2, v22
	v_add_f32_e32 v5, v12, v5
	v_add_f32_e32 v10, v10, v18
	v_add_f32_e32 v11, v11, v14
	v_div_fixup_f32 v3, v7, v2, v3
	v_add_f32_e32 v13, v3, v5
	v_mov_b32_e32 v12, v6
	v_mov_b32_e32 v7, v2
.LBB22_23:
	s_or_b64 exec, exec, s[4:5]
	v_cmp_eq_u32_e32 vcc, 0, v1
	s_and_saveexec_b64 s[0:1], vcc
	s_cbranch_execz .LBB22_25
; %bb.24:
	v_lshrrev_b32_e32 v2, 6, v0
	v_mul_u32_u24_e32 v2, 28, v2
	ds_write2_b32 v2, v7, v8 offset1:1
	ds_write2_b32 v2, v9, v10 offset0:2 offset1:3
	ds_write2_b32 v2, v11, v12 offset0:4 offset1:5
	ds_write_b32 v2, v13 offset:24
.LBB22_25:
	s_or_b64 exec, exec, s[0:1]
	v_cmp_gt_u32_e32 vcc, 4, v0
	s_waitcnt lgkmcnt(0)
	s_barrier
	s_and_saveexec_b64 s[4:5], vcc
	s_cbranch_execz .LBB22_31
; %bb.26:
	v_mul_u32_u24_e32 v2, 28, v1
	ds_read2_b32 v[7:8], v2 offset1:1
	ds_read2_b32 v[9:10], v2 offset0:2 offset1:3
	ds_read2_b32 v[11:12], v2 offset0:4 offset1:5
	ds_read_b32 v13, v2 offset:24
	v_and_b32_e32 v2, 3, v1
	v_cmp_ne_u32_e32 vcc, 3, v2
	v_addc_co_u32_e32 v1, vcc, 0, v1, vcc
	v_lshlrev_b32_e32 v1, 2, v1
	s_waitcnt lgkmcnt(3)
	ds_bpermute_b32 v14, v1, v7
	ds_bpermute_b32 v18, v1, v8
	s_waitcnt lgkmcnt(4)
	ds_bpermute_b32 v17, v1, v9
	ds_bpermute_b32 v19, v1, v10
	;; [unrolled: 3-line block ×3, first 2 shown]
	s_waitcnt lgkmcnt(6)
	ds_bpermute_b32 v3, v1, v13
	s_add_i32 s7, s7, 63
	s_lshr_b32 s7, s7, 6
	v_add_u32_e32 v15, 1, v2
	v_cmp_gt_u32_e32 vcc, s7, v15
	v_mov_b32_e32 v16, v12
	v_mov_b32_e32 v15, v11
	;; [unrolled: 1-line block ×3, first 2 shown]
	s_and_saveexec_b64 s[8:9], vcc
	s_cbranch_execz .LBB22_28
; %bb.27:
	s_waitcnt lgkmcnt(3)
	v_sub_f32_e32 v15, v19, v10
	v_add_f32_e32 v1, v7, v14
	v_mul_f32_e32 v16, v15, v14
	v_div_scale_f32 v19, s[0:1], v1, v1, v16
	v_cmp_gt_f32_e64 s[0:1], v8, v18
	v_cndmask_b32_e64 v8, v8, v18, s[0:1]
	v_mul_f32_e32 v18, v15, v15
	v_div_scale_f32 v20, vcc, v16, v1, v16
	v_mul_f32_e32 v22, v7, v18
	v_cmp_lt_f32_e64 s[0:1], v9, v17
	v_mul_f32_e32 v22, v22, v14
	v_cndmask_b32_e64 v9, v9, v17, s[0:1]
	v_div_scale_f32 v24, s[0:1], v1, v1, v22
	v_div_scale_f32 v29, s[0:1], v22, v1, v22
	v_mul_f32_e32 v25, v15, v18
	v_rcp_f32_e32 v23, v19
	v_mul_f32_e32 v26, v15, v25
	v_mul_f32_e32 v25, v7, v25
	;; [unrolled: 1-line block ×3, first 2 shown]
	v_fma_f32 v27, -v19, v23, 1.0
	v_fmac_f32_e32 v23, v27, v23
	v_mul_f32_e32 v27, v20, v23
	v_fma_f32 v28, -v19, v27, v20
	v_fmac_f32_e32 v27, v28, v23
	v_sub_f32_e32 v30, v7, v14
	v_mul_f32_e32 v17, v1, v1
	v_rcp_f32_e32 v28, v24
	v_mul_f32_e32 v25, v30, v25
	v_fma_f32 v19, -v19, v27, v20
	v_div_scale_f32 v30, s[2:3], v17, v17, v25
	v_fma_f32 v20, -v24, v28, 1.0
	v_fmac_f32_e32 v28, v20, v28
	v_div_fmas_f32 v19, v19, v23, v27
	v_mul_f32_e32 v23, v29, v28
	v_fma_f32 v27, -v24, v23, v29
	v_fmac_f32_e32 v23, v27, v28
	v_fma_f32 v24, -v24, v23, v29
	s_mov_b64 vcc, s[0:1]
	v_div_fmas_f32 v23, v24, v28, v23
	v_mul_f32_e32 v28, v11, v14
	v_div_scale_f32 v20, s[2:3], v25, v17, v25
	v_mul_f32_e32 v27, 0x40400000, v15
	s_waitcnt lgkmcnt(2)
	v_fma_f32 v28, v7, v6, -v28
	v_mul_f32_e32 v27, v27, v28
	v_div_scale_f32 v28, s[0:1], v1, v1, v27
	v_div_scale_f32 v31, s[0:1], v27, v1, v27
	v_rcp_f32_e32 v24, v30
	v_mul_f32_e32 v32, v7, v7
	v_mul_f32_e32 v26, v7, v26
	v_fma_f32 v33, -v7, v14, v32
	v_fma_f32 v29, -v30, v24, 1.0
	v_fmac_f32_e32 v24, v29, v24
	v_mul_f32_e32 v26, v26, v14
	v_mul_f32_e32 v29, v20, v24
	v_fma_f32 v34, -v30, v29, v20
	v_fmac_f32_e32 v29, v34, v24
	v_fmac_f32_e32 v33, v14, v14
	v_mul_f32_e32 v21, v1, v17
	v_rcp_f32_e32 v34, v28
	v_mul_f32_e32 v26, v33, v26
	v_fma_f32 v20, -v30, v29, v20
	s_mov_b64 vcc, s[2:3]
	v_div_scale_f32 v33, s[26:27], v21, v21, v26
	v_div_fmas_f32 v20, v20, v24, v29
	v_fma_f32 v24, -v28, v34, 1.0
	v_fmac_f32_e32 v34, v24, v34
	v_mul_f32_e32 v24, v31, v34
	v_fma_f32 v29, -v28, v24, v31
	v_fmac_f32_e32 v24, v29, v34
	v_fma_f32 v28, -v28, v24, v31
	s_mov_b64 vcc, s[0:1]
	v_div_fmas_f32 v24, v28, v34, v24
	v_div_scale_f32 v30, vcc, v26, v21, v26
	v_mul_f32_e32 v28, v14, v14
	v_mul_f32_e32 v31, v32, v6
	;; [unrolled: 1-line block ×3, first 2 shown]
	v_fmac_f32_e32 v31, v11, v28
	v_mul_f32_e32 v18, v18, v31
	v_div_scale_f32 v28, s[0:1], v17, v17, v18
	v_mul_f32_e32 v14, v12, v14
	v_rcp_f32_e32 v29, v33
	v_div_scale_f32 v32, s[0:1], v18, v17, v18
	v_mul_f32_e32 v15, 4.0, v15
	s_waitcnt lgkmcnt(1)
	v_fma_f32 v7, v7, v5, -v14
	v_mul_f32_e32 v7, v15, v7
	v_div_scale_f32 v14, s[2:3], v1, v1, v7
	v_fma_f32 v31, -v33, v29, 1.0
	v_fmac_f32_e32 v29, v31, v29
	v_mul_f32_e32 v15, v30, v29
	v_fma_f32 v31, -v33, v15, v30
	v_fmac_f32_e32 v15, v31, v29
	v_div_scale_f32 v31, s[2:3], v7, v1, v7
	v_rcp_f32_e32 v34, v28
	v_fma_f32 v30, -v33, v15, v30
	v_div_fmas_f32 v29, v30, v29, v15
	s_mov_b64 vcc, s[0:1]
	v_fma_f32 v15, -v28, v34, 1.0
	v_fmac_f32_e32 v34, v15, v34
	v_mul_f32_e32 v15, v32, v34
	v_fma_f32 v30, -v28, v15, v32
	v_fmac_f32_e32 v15, v30, v34
	v_rcp_f32_e32 v30, v14
	v_fma_f32 v28, -v28, v15, v32
	v_div_fmas_f32 v28, v28, v34, v15
	s_mov_b64 vcc, s[2:3]
	v_fma_f32 v15, -v14, v30, 1.0
	v_fmac_f32_e32 v30, v15, v30
	v_mul_f32_e32 v15, v31, v30
	v_fma_f32 v32, -v14, v15, v31
	v_fmac_f32_e32 v15, v32, v30
	v_fma_f32 v14, -v14, v15, v31
	v_div_fmas_f32 v14, v14, v30, v15
	v_div_fixup_f32 v15, v19, v1, v16
	v_add_f32_e32 v6, v11, v6
	v_div_fixup_f32 v11, v23, v1, v22
	v_add_f32_e32 v10, v10, v15
	v_add_f32_e32 v15, v6, v11
	;; [unrolled: 1-line block ×3, first 2 shown]
	v_div_fixup_f32 v6, v20, v17, v25
	v_add_f32_e32 v5, v5, v6
	v_div_fixup_f32 v6, v24, v1, v27
	v_add_f32_e32 v16, v6, v5
	s_waitcnt lgkmcnt(0)
	v_add_f32_e32 v3, v13, v3
	v_div_fixup_f32 v5, v29, v21, v26
	v_add_f32_e32 v3, v3, v5
	v_div_fixup_f32 v5, v28, v17, v18
	;; [unrolled: 2-line block ×3, first 2 shown]
	v_add_f32_e32 v13, v5, v3
	v_mov_b32_e32 v12, v16
	v_mov_b32_e32 v11, v15
	;; [unrolled: 1-line block ×3, first 2 shown]
.LBB22_28:
	s_or_b64 exec, exec, s[8:9]
	s_waitcnt lgkmcnt(5)
	v_or_b32_e32 v18, 8, v4
	s_waitcnt lgkmcnt(1)
	ds_bpermute_b32 v5, v18, v1
	ds_bpermute_b32 v14, v18, v8
	;; [unrolled: 1-line block ×5, first 2 shown]
	s_waitcnt lgkmcnt(5)
	ds_bpermute_b32 v3, v18, v16
	ds_bpermute_b32 v1, v18, v13
	v_add_u32_e32 v2, 2, v2
	v_cmp_gt_u32_e32 vcc, s7, v2
	s_and_saveexec_b64 s[8:9], vcc
	s_cbranch_execz .LBB22_30
; %bb.29:
	s_waitcnt lgkmcnt(3)
	v_sub_f32_e32 v15, v17, v10
	v_add_f32_e32 v2, v7, v5
	v_mul_f32_e32 v16, v15, v5
	v_div_scale_f32 v17, s[0:1], v2, v2, v16
	v_cmp_gt_f32_e64 s[0:1], v8, v14
	v_cndmask_b32_e64 v8, v8, v14, s[0:1]
	v_mul_f32_e32 v14, v15, v15
	v_div_scale_f32 v18, vcc, v16, v2, v16
	v_mul_f32_e32 v20, v7, v14
	v_cmp_lt_f32_e64 s[0:1], v9, v6
	v_mul_f32_e32 v20, v20, v5
	v_cndmask_b32_e64 v9, v9, v6, s[0:1]
	v_div_scale_f32 v22, s[0:1], v2, v2, v20
	v_div_scale_f32 v27, s[0:1], v20, v2, v20
	v_mul_f32_e32 v23, v15, v14
	v_rcp_f32_e32 v21, v17
	v_mul_f32_e32 v24, v15, v23
	v_mul_f32_e32 v23, v7, v23
	;; [unrolled: 1-line block ×3, first 2 shown]
	v_fma_f32 v25, -v17, v21, 1.0
	v_fmac_f32_e32 v21, v25, v21
	v_mul_f32_e32 v25, v18, v21
	v_fma_f32 v26, -v17, v25, v18
	v_fmac_f32_e32 v25, v26, v21
	v_sub_f32_e32 v28, v7, v5
	v_mul_f32_e32 v6, v2, v2
	v_rcp_f32_e32 v26, v22
	v_mul_f32_e32 v23, v28, v23
	v_fma_f32 v17, -v17, v25, v18
	v_div_scale_f32 v28, s[2:3], v6, v6, v23
	v_fma_f32 v18, -v22, v26, 1.0
	v_fmac_f32_e32 v26, v18, v26
	v_div_fmas_f32 v17, v17, v21, v25
	v_mul_f32_e32 v21, v27, v26
	v_fma_f32 v25, -v22, v21, v27
	v_fmac_f32_e32 v21, v25, v26
	v_fma_f32 v22, -v22, v21, v27
	s_mov_b64 vcc, s[0:1]
	v_div_fmas_f32 v21, v22, v26, v21
	v_mul_f32_e32 v26, v11, v5
	v_div_scale_f32 v18, s[2:3], v23, v6, v23
	v_mul_f32_e32 v25, 0x40400000, v15
	s_waitcnt lgkmcnt(2)
	v_fma_f32 v26, v7, v4, -v26
	v_mul_f32_e32 v25, v25, v26
	v_div_scale_f32 v26, s[0:1], v2, v2, v25
	v_div_scale_f32 v29, s[0:1], v25, v2, v25
	v_rcp_f32_e32 v22, v28
	v_mul_f32_e32 v30, v7, v7
	v_mul_f32_e32 v24, v7, v24
	v_fma_f32 v31, -v7, v5, v30
	v_fma_f32 v27, -v28, v22, 1.0
	v_fmac_f32_e32 v22, v27, v22
	v_mul_f32_e32 v24, v24, v5
	v_mul_f32_e32 v27, v18, v22
	v_fma_f32 v32, -v28, v27, v18
	v_fmac_f32_e32 v27, v32, v22
	v_fmac_f32_e32 v31, v5, v5
	v_mul_f32_e32 v19, v2, v6
	v_rcp_f32_e32 v32, v26
	v_mul_f32_e32 v24, v31, v24
	v_fma_f32 v18, -v28, v27, v18
	s_mov_b64 vcc, s[2:3]
	v_div_scale_f32 v31, s[26:27], v19, v19, v24
	v_div_fmas_f32 v18, v18, v22, v27
	v_fma_f32 v22, -v26, v32, 1.0
	v_fmac_f32_e32 v32, v22, v32
	v_mul_f32_e32 v22, v29, v32
	v_fma_f32 v27, -v26, v22, v29
	v_fmac_f32_e32 v22, v27, v32
	v_fma_f32 v26, -v26, v22, v29
	s_mov_b64 vcc, s[0:1]
	v_div_fmas_f32 v22, v26, v32, v22
	v_div_scale_f32 v28, vcc, v24, v19, v24
	v_mul_f32_e32 v26, v5, v5
	v_mul_f32_e32 v29, v30, v4
	;; [unrolled: 1-line block ×3, first 2 shown]
	v_fmac_f32_e32 v29, v11, v26
	v_mul_f32_e32 v14, v14, v29
	v_div_scale_f32 v26, s[0:1], v6, v6, v14
	v_mul_f32_e32 v5, v12, v5
	v_rcp_f32_e32 v27, v31
	v_div_scale_f32 v30, s[0:1], v14, v6, v14
	v_mul_f32_e32 v15, 4.0, v15
	s_waitcnt lgkmcnt(1)
	v_fma_f32 v5, v7, v3, -v5
	v_mul_f32_e32 v5, v15, v5
	v_div_scale_f32 v7, s[2:3], v2, v2, v5
	v_fma_f32 v29, -v31, v27, 1.0
	v_fmac_f32_e32 v27, v29, v27
	v_mul_f32_e32 v15, v28, v27
	v_fma_f32 v29, -v31, v15, v28
	v_fmac_f32_e32 v15, v29, v27
	v_div_scale_f32 v29, s[2:3], v5, v2, v5
	v_rcp_f32_e32 v32, v26
	v_fma_f32 v28, -v31, v15, v28
	v_div_fmas_f32 v15, v28, v27, v15
	s_mov_b64 vcc, s[0:1]
	v_fma_f32 v27, -v26, v32, 1.0
	v_fmac_f32_e32 v32, v27, v32
	v_mul_f32_e32 v27, v30, v32
	v_fma_f32 v28, -v26, v27, v30
	v_fmac_f32_e32 v27, v28, v32
	v_rcp_f32_e32 v28, v7
	v_fma_f32 v26, -v26, v27, v30
	v_div_fmas_f32 v26, v26, v32, v27
	s_mov_b64 vcc, s[2:3]
	v_fma_f32 v27, -v7, v28, 1.0
	v_fmac_f32_e32 v28, v27, v28
	v_mul_f32_e32 v27, v29, v28
	v_fma_f32 v30, -v7, v27, v29
	v_fmac_f32_e32 v27, v30, v28
	v_fma_f32 v7, -v7, v27, v29
	v_div_fmas_f32 v7, v7, v28, v27
	v_add_f32_e32 v4, v11, v4
	v_div_fixup_f32 v11, v21, v2, v20
	v_add_f32_e32 v4, v4, v11
	v_add_f32_e32 v3, v12, v3
	v_div_fixup_f32 v11, v18, v6, v23
	v_add_f32_e32 v3, v3, v11
	v_div_fixup_f32 v11, v22, v2, v25
	v_add_f32_e32 v12, v11, v3
	s_waitcnt lgkmcnt(0)
	v_add_f32_e32 v1, v13, v1
	v_div_fixup_f32 v11, v15, v19, v24
	v_add_f32_e32 v1, v1, v11
	v_div_fixup_f32 v6, v26, v6, v14
	v_div_fixup_f32 v16, v17, v2, v16
	v_add_f32_e32 v1, v6, v1
	v_add_f32_e32 v10, v10, v16
	v_div_fixup_f32 v5, v7, v2, v5
	v_add_f32_e32 v13, v5, v1
	v_mov_b32_e32 v7, v2
	v_mov_b32_e32 v11, v4
.LBB22_30:
	s_or_b64 exec, exec, s[8:9]
.LBB22_31:
	s_or_b64 exec, exec, s[4:5]
.LBB22_32:
	v_cmp_eq_u32_e32 vcc, 0, v0
	s_and_saveexec_b64 s[0:1], vcc
	s_cbranch_execnz .LBB22_34
; %bb.33:
	s_endpgm
.LBB22_34:
	s_cmp_eq_u64 s[10:11], 0
	v_mov_b32_e32 v0, s16
	s_waitcnt lgkmcnt(0)
	v_mov_b32_e32 v1, s17
	v_mov_b32_e32 v2, s18
	;; [unrolled: 1-line block ×6, first 2 shown]
	s_cbranch_scc1 .LBB22_36
; %bb.35:
	v_mov_b32_e32 v0, v7
	v_mov_b32_e32 v1, v8
	;; [unrolled: 1-line block ×7, first 2 shown]
.LBB22_36:
	s_mul_i32 s0, s24, s15
	s_mul_hi_u32 s1, s24, s14
	s_add_i32 s0, s1, s0
	s_mul_i32 s1, s25, s14
	s_add_i32 s0, s0, s1
	s_mul_i32 s1, s24, s14
	s_mul_i32 s0, s0, 28
	s_mul_hi_u32 s2, s1, 28
	s_add_i32 s2, s2, s0
	s_mul_i32 s1, s1, 28
	s_add_u32 s0, s12, s1
	s_addc_u32 s1, s13, s2
	s_mul_i32 s3, s6, 28
	s_mul_hi_u32 s2, s6, 28
	s_add_u32 s0, s0, s3
	s_addc_u32 s1, s1, s2
	v_mov_b32_e32 v7, 0
	global_store_dwordx4 v7, v[0:3], s[0:1]
	global_store_dwordx3 v7, v[4:6], s[0:1] offset:16
	s_endpgm
	.section	.rodata,"a",@progbits
	.p2align	6, 0x0
	.amdhsa_kernel _ZN7rocprim17ROCPRIM_400000_NS6detail17trampoline_kernelINS0_14default_configENS1_22reduce_config_selectorI18summary_stats_dataIfEEEZNS1_11reduce_implILb1ES3_N6thrust23THRUST_200600_302600_NS11hip_rocprim26transform_input_iterator_tIS6_NSA_6detail15normal_iteratorINSA_10device_ptrIfEEEE22summary_stats_unary_opIfEEEPS6_S6_23summary_stats_binary_opIfEEE10hipError_tPvRmT1_T2_T3_mT4_P12ihipStream_tbEUlT_E0_NS1_11comp_targetILNS1_3genE2ELNS1_11target_archE906ELNS1_3gpuE6ELNS1_3repE0EEENS1_30default_config_static_selectorELNS0_4arch9wavefront6targetE1EEEvSR_
		.amdhsa_group_segment_fixed_size 224
		.amdhsa_private_segment_fixed_size 0
		.amdhsa_kernarg_size 88
		.amdhsa_user_sgpr_count 6
		.amdhsa_user_sgpr_private_segment_buffer 1
		.amdhsa_user_sgpr_dispatch_ptr 0
		.amdhsa_user_sgpr_queue_ptr 0
		.amdhsa_user_sgpr_kernarg_segment_ptr 1
		.amdhsa_user_sgpr_dispatch_id 0
		.amdhsa_user_sgpr_flat_scratch_init 0
		.amdhsa_user_sgpr_private_segment_size 0
		.amdhsa_uses_dynamic_stack 0
		.amdhsa_system_sgpr_private_segment_wavefront_offset 0
		.amdhsa_system_sgpr_workgroup_id_x 1
		.amdhsa_system_sgpr_workgroup_id_y 0
		.amdhsa_system_sgpr_workgroup_id_z 0
		.amdhsa_system_sgpr_workgroup_info 0
		.amdhsa_system_vgpr_workitem_id 0
		.amdhsa_next_free_vgpr 38
		.amdhsa_next_free_sgpr 28
		.amdhsa_reserve_vcc 1
		.amdhsa_reserve_flat_scratch 0
		.amdhsa_float_round_mode_32 0
		.amdhsa_float_round_mode_16_64 0
		.amdhsa_float_denorm_mode_32 3
		.amdhsa_float_denorm_mode_16_64 3
		.amdhsa_dx10_clamp 1
		.amdhsa_ieee_mode 1
		.amdhsa_fp16_overflow 0
		.amdhsa_exception_fp_ieee_invalid_op 0
		.amdhsa_exception_fp_denorm_src 0
		.amdhsa_exception_fp_ieee_div_zero 0
		.amdhsa_exception_fp_ieee_overflow 0
		.amdhsa_exception_fp_ieee_underflow 0
		.amdhsa_exception_fp_ieee_inexact 0
		.amdhsa_exception_int_div_zero 0
	.end_amdhsa_kernel
	.section	.text._ZN7rocprim17ROCPRIM_400000_NS6detail17trampoline_kernelINS0_14default_configENS1_22reduce_config_selectorI18summary_stats_dataIfEEEZNS1_11reduce_implILb1ES3_N6thrust23THRUST_200600_302600_NS11hip_rocprim26transform_input_iterator_tIS6_NSA_6detail15normal_iteratorINSA_10device_ptrIfEEEE22summary_stats_unary_opIfEEEPS6_S6_23summary_stats_binary_opIfEEE10hipError_tPvRmT1_T2_T3_mT4_P12ihipStream_tbEUlT_E0_NS1_11comp_targetILNS1_3genE2ELNS1_11target_archE906ELNS1_3gpuE6ELNS1_3repE0EEENS1_30default_config_static_selectorELNS0_4arch9wavefront6targetE1EEEvSR_,"axG",@progbits,_ZN7rocprim17ROCPRIM_400000_NS6detail17trampoline_kernelINS0_14default_configENS1_22reduce_config_selectorI18summary_stats_dataIfEEEZNS1_11reduce_implILb1ES3_N6thrust23THRUST_200600_302600_NS11hip_rocprim26transform_input_iterator_tIS6_NSA_6detail15normal_iteratorINSA_10device_ptrIfEEEE22summary_stats_unary_opIfEEEPS6_S6_23summary_stats_binary_opIfEEE10hipError_tPvRmT1_T2_T3_mT4_P12ihipStream_tbEUlT_E0_NS1_11comp_targetILNS1_3genE2ELNS1_11target_archE906ELNS1_3gpuE6ELNS1_3repE0EEENS1_30default_config_static_selectorELNS0_4arch9wavefront6targetE1EEEvSR_,comdat
.Lfunc_end22:
	.size	_ZN7rocprim17ROCPRIM_400000_NS6detail17trampoline_kernelINS0_14default_configENS1_22reduce_config_selectorI18summary_stats_dataIfEEEZNS1_11reduce_implILb1ES3_N6thrust23THRUST_200600_302600_NS11hip_rocprim26transform_input_iterator_tIS6_NSA_6detail15normal_iteratorINSA_10device_ptrIfEEEE22summary_stats_unary_opIfEEEPS6_S6_23summary_stats_binary_opIfEEE10hipError_tPvRmT1_T2_T3_mT4_P12ihipStream_tbEUlT_E0_NS1_11comp_targetILNS1_3genE2ELNS1_11target_archE906ELNS1_3gpuE6ELNS1_3repE0EEENS1_30default_config_static_selectorELNS0_4arch9wavefront6targetE1EEEvSR_, .Lfunc_end22-_ZN7rocprim17ROCPRIM_400000_NS6detail17trampoline_kernelINS0_14default_configENS1_22reduce_config_selectorI18summary_stats_dataIfEEEZNS1_11reduce_implILb1ES3_N6thrust23THRUST_200600_302600_NS11hip_rocprim26transform_input_iterator_tIS6_NSA_6detail15normal_iteratorINSA_10device_ptrIfEEEE22summary_stats_unary_opIfEEEPS6_S6_23summary_stats_binary_opIfEEE10hipError_tPvRmT1_T2_T3_mT4_P12ihipStream_tbEUlT_E0_NS1_11comp_targetILNS1_3genE2ELNS1_11target_archE906ELNS1_3gpuE6ELNS1_3repE0EEENS1_30default_config_static_selectorELNS0_4arch9wavefront6targetE1EEEvSR_
                                        ; -- End function
	.set _ZN7rocprim17ROCPRIM_400000_NS6detail17trampoline_kernelINS0_14default_configENS1_22reduce_config_selectorI18summary_stats_dataIfEEEZNS1_11reduce_implILb1ES3_N6thrust23THRUST_200600_302600_NS11hip_rocprim26transform_input_iterator_tIS6_NSA_6detail15normal_iteratorINSA_10device_ptrIfEEEE22summary_stats_unary_opIfEEEPS6_S6_23summary_stats_binary_opIfEEE10hipError_tPvRmT1_T2_T3_mT4_P12ihipStream_tbEUlT_E0_NS1_11comp_targetILNS1_3genE2ELNS1_11target_archE906ELNS1_3gpuE6ELNS1_3repE0EEENS1_30default_config_static_selectorELNS0_4arch9wavefront6targetE1EEEvSR_.num_vgpr, 38
	.set _ZN7rocprim17ROCPRIM_400000_NS6detail17trampoline_kernelINS0_14default_configENS1_22reduce_config_selectorI18summary_stats_dataIfEEEZNS1_11reduce_implILb1ES3_N6thrust23THRUST_200600_302600_NS11hip_rocprim26transform_input_iterator_tIS6_NSA_6detail15normal_iteratorINSA_10device_ptrIfEEEE22summary_stats_unary_opIfEEEPS6_S6_23summary_stats_binary_opIfEEE10hipError_tPvRmT1_T2_T3_mT4_P12ihipStream_tbEUlT_E0_NS1_11comp_targetILNS1_3genE2ELNS1_11target_archE906ELNS1_3gpuE6ELNS1_3repE0EEENS1_30default_config_static_selectorELNS0_4arch9wavefront6targetE1EEEvSR_.num_agpr, 0
	.set _ZN7rocprim17ROCPRIM_400000_NS6detail17trampoline_kernelINS0_14default_configENS1_22reduce_config_selectorI18summary_stats_dataIfEEEZNS1_11reduce_implILb1ES3_N6thrust23THRUST_200600_302600_NS11hip_rocprim26transform_input_iterator_tIS6_NSA_6detail15normal_iteratorINSA_10device_ptrIfEEEE22summary_stats_unary_opIfEEEPS6_S6_23summary_stats_binary_opIfEEE10hipError_tPvRmT1_T2_T3_mT4_P12ihipStream_tbEUlT_E0_NS1_11comp_targetILNS1_3genE2ELNS1_11target_archE906ELNS1_3gpuE6ELNS1_3repE0EEENS1_30default_config_static_selectorELNS0_4arch9wavefront6targetE1EEEvSR_.numbered_sgpr, 28
	.set _ZN7rocprim17ROCPRIM_400000_NS6detail17trampoline_kernelINS0_14default_configENS1_22reduce_config_selectorI18summary_stats_dataIfEEEZNS1_11reduce_implILb1ES3_N6thrust23THRUST_200600_302600_NS11hip_rocprim26transform_input_iterator_tIS6_NSA_6detail15normal_iteratorINSA_10device_ptrIfEEEE22summary_stats_unary_opIfEEEPS6_S6_23summary_stats_binary_opIfEEE10hipError_tPvRmT1_T2_T3_mT4_P12ihipStream_tbEUlT_E0_NS1_11comp_targetILNS1_3genE2ELNS1_11target_archE906ELNS1_3gpuE6ELNS1_3repE0EEENS1_30default_config_static_selectorELNS0_4arch9wavefront6targetE1EEEvSR_.num_named_barrier, 0
	.set _ZN7rocprim17ROCPRIM_400000_NS6detail17trampoline_kernelINS0_14default_configENS1_22reduce_config_selectorI18summary_stats_dataIfEEEZNS1_11reduce_implILb1ES3_N6thrust23THRUST_200600_302600_NS11hip_rocprim26transform_input_iterator_tIS6_NSA_6detail15normal_iteratorINSA_10device_ptrIfEEEE22summary_stats_unary_opIfEEEPS6_S6_23summary_stats_binary_opIfEEE10hipError_tPvRmT1_T2_T3_mT4_P12ihipStream_tbEUlT_E0_NS1_11comp_targetILNS1_3genE2ELNS1_11target_archE906ELNS1_3gpuE6ELNS1_3repE0EEENS1_30default_config_static_selectorELNS0_4arch9wavefront6targetE1EEEvSR_.private_seg_size, 0
	.set _ZN7rocprim17ROCPRIM_400000_NS6detail17trampoline_kernelINS0_14default_configENS1_22reduce_config_selectorI18summary_stats_dataIfEEEZNS1_11reduce_implILb1ES3_N6thrust23THRUST_200600_302600_NS11hip_rocprim26transform_input_iterator_tIS6_NSA_6detail15normal_iteratorINSA_10device_ptrIfEEEE22summary_stats_unary_opIfEEEPS6_S6_23summary_stats_binary_opIfEEE10hipError_tPvRmT1_T2_T3_mT4_P12ihipStream_tbEUlT_E0_NS1_11comp_targetILNS1_3genE2ELNS1_11target_archE906ELNS1_3gpuE6ELNS1_3repE0EEENS1_30default_config_static_selectorELNS0_4arch9wavefront6targetE1EEEvSR_.uses_vcc, 1
	.set _ZN7rocprim17ROCPRIM_400000_NS6detail17trampoline_kernelINS0_14default_configENS1_22reduce_config_selectorI18summary_stats_dataIfEEEZNS1_11reduce_implILb1ES3_N6thrust23THRUST_200600_302600_NS11hip_rocprim26transform_input_iterator_tIS6_NSA_6detail15normal_iteratorINSA_10device_ptrIfEEEE22summary_stats_unary_opIfEEEPS6_S6_23summary_stats_binary_opIfEEE10hipError_tPvRmT1_T2_T3_mT4_P12ihipStream_tbEUlT_E0_NS1_11comp_targetILNS1_3genE2ELNS1_11target_archE906ELNS1_3gpuE6ELNS1_3repE0EEENS1_30default_config_static_selectorELNS0_4arch9wavefront6targetE1EEEvSR_.uses_flat_scratch, 0
	.set _ZN7rocprim17ROCPRIM_400000_NS6detail17trampoline_kernelINS0_14default_configENS1_22reduce_config_selectorI18summary_stats_dataIfEEEZNS1_11reduce_implILb1ES3_N6thrust23THRUST_200600_302600_NS11hip_rocprim26transform_input_iterator_tIS6_NSA_6detail15normal_iteratorINSA_10device_ptrIfEEEE22summary_stats_unary_opIfEEEPS6_S6_23summary_stats_binary_opIfEEE10hipError_tPvRmT1_T2_T3_mT4_P12ihipStream_tbEUlT_E0_NS1_11comp_targetILNS1_3genE2ELNS1_11target_archE906ELNS1_3gpuE6ELNS1_3repE0EEENS1_30default_config_static_selectorELNS0_4arch9wavefront6targetE1EEEvSR_.has_dyn_sized_stack, 0
	.set _ZN7rocprim17ROCPRIM_400000_NS6detail17trampoline_kernelINS0_14default_configENS1_22reduce_config_selectorI18summary_stats_dataIfEEEZNS1_11reduce_implILb1ES3_N6thrust23THRUST_200600_302600_NS11hip_rocprim26transform_input_iterator_tIS6_NSA_6detail15normal_iteratorINSA_10device_ptrIfEEEE22summary_stats_unary_opIfEEEPS6_S6_23summary_stats_binary_opIfEEE10hipError_tPvRmT1_T2_T3_mT4_P12ihipStream_tbEUlT_E0_NS1_11comp_targetILNS1_3genE2ELNS1_11target_archE906ELNS1_3gpuE6ELNS1_3repE0EEENS1_30default_config_static_selectorELNS0_4arch9wavefront6targetE1EEEvSR_.has_recursion, 0
	.set _ZN7rocprim17ROCPRIM_400000_NS6detail17trampoline_kernelINS0_14default_configENS1_22reduce_config_selectorI18summary_stats_dataIfEEEZNS1_11reduce_implILb1ES3_N6thrust23THRUST_200600_302600_NS11hip_rocprim26transform_input_iterator_tIS6_NSA_6detail15normal_iteratorINSA_10device_ptrIfEEEE22summary_stats_unary_opIfEEEPS6_S6_23summary_stats_binary_opIfEEE10hipError_tPvRmT1_T2_T3_mT4_P12ihipStream_tbEUlT_E0_NS1_11comp_targetILNS1_3genE2ELNS1_11target_archE906ELNS1_3gpuE6ELNS1_3repE0EEENS1_30default_config_static_selectorELNS0_4arch9wavefront6targetE1EEEvSR_.has_indirect_call, 0
	.section	.AMDGPU.csdata,"",@progbits
; Kernel info:
; codeLenInByte = 14380
; TotalNumSgprs: 32
; NumVgprs: 38
; ScratchSize: 0
; MemoryBound: 0
; FloatMode: 240
; IeeeMode: 1
; LDSByteSize: 224 bytes/workgroup (compile time only)
; SGPRBlocks: 3
; VGPRBlocks: 9
; NumSGPRsForWavesPerEU: 32
; NumVGPRsForWavesPerEU: 38
; Occupancy: 6
; WaveLimiterHint : 1
; COMPUTE_PGM_RSRC2:SCRATCH_EN: 0
; COMPUTE_PGM_RSRC2:USER_SGPR: 6
; COMPUTE_PGM_RSRC2:TRAP_HANDLER: 0
; COMPUTE_PGM_RSRC2:TGID_X_EN: 1
; COMPUTE_PGM_RSRC2:TGID_Y_EN: 0
; COMPUTE_PGM_RSRC2:TGID_Z_EN: 0
; COMPUTE_PGM_RSRC2:TIDIG_COMP_CNT: 0
	.section	.text._ZN7rocprim17ROCPRIM_400000_NS6detail17trampoline_kernelINS0_14default_configENS1_22reduce_config_selectorI18summary_stats_dataIfEEEZNS1_11reduce_implILb1ES3_N6thrust23THRUST_200600_302600_NS11hip_rocprim26transform_input_iterator_tIS6_NSA_6detail15normal_iteratorINSA_10device_ptrIfEEEE22summary_stats_unary_opIfEEEPS6_S6_23summary_stats_binary_opIfEEE10hipError_tPvRmT1_T2_T3_mT4_P12ihipStream_tbEUlT_E0_NS1_11comp_targetILNS1_3genE10ELNS1_11target_archE1201ELNS1_3gpuE5ELNS1_3repE0EEENS1_30default_config_static_selectorELNS0_4arch9wavefront6targetE1EEEvSR_,"axG",@progbits,_ZN7rocprim17ROCPRIM_400000_NS6detail17trampoline_kernelINS0_14default_configENS1_22reduce_config_selectorI18summary_stats_dataIfEEEZNS1_11reduce_implILb1ES3_N6thrust23THRUST_200600_302600_NS11hip_rocprim26transform_input_iterator_tIS6_NSA_6detail15normal_iteratorINSA_10device_ptrIfEEEE22summary_stats_unary_opIfEEEPS6_S6_23summary_stats_binary_opIfEEE10hipError_tPvRmT1_T2_T3_mT4_P12ihipStream_tbEUlT_E0_NS1_11comp_targetILNS1_3genE10ELNS1_11target_archE1201ELNS1_3gpuE5ELNS1_3repE0EEENS1_30default_config_static_selectorELNS0_4arch9wavefront6targetE1EEEvSR_,comdat
	.protected	_ZN7rocprim17ROCPRIM_400000_NS6detail17trampoline_kernelINS0_14default_configENS1_22reduce_config_selectorI18summary_stats_dataIfEEEZNS1_11reduce_implILb1ES3_N6thrust23THRUST_200600_302600_NS11hip_rocprim26transform_input_iterator_tIS6_NSA_6detail15normal_iteratorINSA_10device_ptrIfEEEE22summary_stats_unary_opIfEEEPS6_S6_23summary_stats_binary_opIfEEE10hipError_tPvRmT1_T2_T3_mT4_P12ihipStream_tbEUlT_E0_NS1_11comp_targetILNS1_3genE10ELNS1_11target_archE1201ELNS1_3gpuE5ELNS1_3repE0EEENS1_30default_config_static_selectorELNS0_4arch9wavefront6targetE1EEEvSR_ ; -- Begin function _ZN7rocprim17ROCPRIM_400000_NS6detail17trampoline_kernelINS0_14default_configENS1_22reduce_config_selectorI18summary_stats_dataIfEEEZNS1_11reduce_implILb1ES3_N6thrust23THRUST_200600_302600_NS11hip_rocprim26transform_input_iterator_tIS6_NSA_6detail15normal_iteratorINSA_10device_ptrIfEEEE22summary_stats_unary_opIfEEEPS6_S6_23summary_stats_binary_opIfEEE10hipError_tPvRmT1_T2_T3_mT4_P12ihipStream_tbEUlT_E0_NS1_11comp_targetILNS1_3genE10ELNS1_11target_archE1201ELNS1_3gpuE5ELNS1_3repE0EEENS1_30default_config_static_selectorELNS0_4arch9wavefront6targetE1EEEvSR_
	.globl	_ZN7rocprim17ROCPRIM_400000_NS6detail17trampoline_kernelINS0_14default_configENS1_22reduce_config_selectorI18summary_stats_dataIfEEEZNS1_11reduce_implILb1ES3_N6thrust23THRUST_200600_302600_NS11hip_rocprim26transform_input_iterator_tIS6_NSA_6detail15normal_iteratorINSA_10device_ptrIfEEEE22summary_stats_unary_opIfEEEPS6_S6_23summary_stats_binary_opIfEEE10hipError_tPvRmT1_T2_T3_mT4_P12ihipStream_tbEUlT_E0_NS1_11comp_targetILNS1_3genE10ELNS1_11target_archE1201ELNS1_3gpuE5ELNS1_3repE0EEENS1_30default_config_static_selectorELNS0_4arch9wavefront6targetE1EEEvSR_
	.p2align	8
	.type	_ZN7rocprim17ROCPRIM_400000_NS6detail17trampoline_kernelINS0_14default_configENS1_22reduce_config_selectorI18summary_stats_dataIfEEEZNS1_11reduce_implILb1ES3_N6thrust23THRUST_200600_302600_NS11hip_rocprim26transform_input_iterator_tIS6_NSA_6detail15normal_iteratorINSA_10device_ptrIfEEEE22summary_stats_unary_opIfEEEPS6_S6_23summary_stats_binary_opIfEEE10hipError_tPvRmT1_T2_T3_mT4_P12ihipStream_tbEUlT_E0_NS1_11comp_targetILNS1_3genE10ELNS1_11target_archE1201ELNS1_3gpuE5ELNS1_3repE0EEENS1_30default_config_static_selectorELNS0_4arch9wavefront6targetE1EEEvSR_,@function
_ZN7rocprim17ROCPRIM_400000_NS6detail17trampoline_kernelINS0_14default_configENS1_22reduce_config_selectorI18summary_stats_dataIfEEEZNS1_11reduce_implILb1ES3_N6thrust23THRUST_200600_302600_NS11hip_rocprim26transform_input_iterator_tIS6_NSA_6detail15normal_iteratorINSA_10device_ptrIfEEEE22summary_stats_unary_opIfEEEPS6_S6_23summary_stats_binary_opIfEEE10hipError_tPvRmT1_T2_T3_mT4_P12ihipStream_tbEUlT_E0_NS1_11comp_targetILNS1_3genE10ELNS1_11target_archE1201ELNS1_3gpuE5ELNS1_3repE0EEENS1_30default_config_static_selectorELNS0_4arch9wavefront6targetE1EEEvSR_: ; @_ZN7rocprim17ROCPRIM_400000_NS6detail17trampoline_kernelINS0_14default_configENS1_22reduce_config_selectorI18summary_stats_dataIfEEEZNS1_11reduce_implILb1ES3_N6thrust23THRUST_200600_302600_NS11hip_rocprim26transform_input_iterator_tIS6_NSA_6detail15normal_iteratorINSA_10device_ptrIfEEEE22summary_stats_unary_opIfEEEPS6_S6_23summary_stats_binary_opIfEEE10hipError_tPvRmT1_T2_T3_mT4_P12ihipStream_tbEUlT_E0_NS1_11comp_targetILNS1_3genE10ELNS1_11target_archE1201ELNS1_3gpuE5ELNS1_3repE0EEENS1_30default_config_static_selectorELNS0_4arch9wavefront6targetE1EEEvSR_
; %bb.0:
	.section	.rodata,"a",@progbits
	.p2align	6, 0x0
	.amdhsa_kernel _ZN7rocprim17ROCPRIM_400000_NS6detail17trampoline_kernelINS0_14default_configENS1_22reduce_config_selectorI18summary_stats_dataIfEEEZNS1_11reduce_implILb1ES3_N6thrust23THRUST_200600_302600_NS11hip_rocprim26transform_input_iterator_tIS6_NSA_6detail15normal_iteratorINSA_10device_ptrIfEEEE22summary_stats_unary_opIfEEEPS6_S6_23summary_stats_binary_opIfEEE10hipError_tPvRmT1_T2_T3_mT4_P12ihipStream_tbEUlT_E0_NS1_11comp_targetILNS1_3genE10ELNS1_11target_archE1201ELNS1_3gpuE5ELNS1_3repE0EEENS1_30default_config_static_selectorELNS0_4arch9wavefront6targetE1EEEvSR_
		.amdhsa_group_segment_fixed_size 0
		.amdhsa_private_segment_fixed_size 0
		.amdhsa_kernarg_size 88
		.amdhsa_user_sgpr_count 6
		.amdhsa_user_sgpr_private_segment_buffer 1
		.amdhsa_user_sgpr_dispatch_ptr 0
		.amdhsa_user_sgpr_queue_ptr 0
		.amdhsa_user_sgpr_kernarg_segment_ptr 1
		.amdhsa_user_sgpr_dispatch_id 0
		.amdhsa_user_sgpr_flat_scratch_init 0
		.amdhsa_user_sgpr_private_segment_size 0
		.amdhsa_uses_dynamic_stack 0
		.amdhsa_system_sgpr_private_segment_wavefront_offset 0
		.amdhsa_system_sgpr_workgroup_id_x 1
		.amdhsa_system_sgpr_workgroup_id_y 0
		.amdhsa_system_sgpr_workgroup_id_z 0
		.amdhsa_system_sgpr_workgroup_info 0
		.amdhsa_system_vgpr_workitem_id 0
		.amdhsa_next_free_vgpr 1
		.amdhsa_next_free_sgpr 0
		.amdhsa_reserve_vcc 0
		.amdhsa_reserve_flat_scratch 0
		.amdhsa_float_round_mode_32 0
		.amdhsa_float_round_mode_16_64 0
		.amdhsa_float_denorm_mode_32 3
		.amdhsa_float_denorm_mode_16_64 3
		.amdhsa_dx10_clamp 1
		.amdhsa_ieee_mode 1
		.amdhsa_fp16_overflow 0
		.amdhsa_exception_fp_ieee_invalid_op 0
		.amdhsa_exception_fp_denorm_src 0
		.amdhsa_exception_fp_ieee_div_zero 0
		.amdhsa_exception_fp_ieee_overflow 0
		.amdhsa_exception_fp_ieee_underflow 0
		.amdhsa_exception_fp_ieee_inexact 0
		.amdhsa_exception_int_div_zero 0
	.end_amdhsa_kernel
	.section	.text._ZN7rocprim17ROCPRIM_400000_NS6detail17trampoline_kernelINS0_14default_configENS1_22reduce_config_selectorI18summary_stats_dataIfEEEZNS1_11reduce_implILb1ES3_N6thrust23THRUST_200600_302600_NS11hip_rocprim26transform_input_iterator_tIS6_NSA_6detail15normal_iteratorINSA_10device_ptrIfEEEE22summary_stats_unary_opIfEEEPS6_S6_23summary_stats_binary_opIfEEE10hipError_tPvRmT1_T2_T3_mT4_P12ihipStream_tbEUlT_E0_NS1_11comp_targetILNS1_3genE10ELNS1_11target_archE1201ELNS1_3gpuE5ELNS1_3repE0EEENS1_30default_config_static_selectorELNS0_4arch9wavefront6targetE1EEEvSR_,"axG",@progbits,_ZN7rocprim17ROCPRIM_400000_NS6detail17trampoline_kernelINS0_14default_configENS1_22reduce_config_selectorI18summary_stats_dataIfEEEZNS1_11reduce_implILb1ES3_N6thrust23THRUST_200600_302600_NS11hip_rocprim26transform_input_iterator_tIS6_NSA_6detail15normal_iteratorINSA_10device_ptrIfEEEE22summary_stats_unary_opIfEEEPS6_S6_23summary_stats_binary_opIfEEE10hipError_tPvRmT1_T2_T3_mT4_P12ihipStream_tbEUlT_E0_NS1_11comp_targetILNS1_3genE10ELNS1_11target_archE1201ELNS1_3gpuE5ELNS1_3repE0EEENS1_30default_config_static_selectorELNS0_4arch9wavefront6targetE1EEEvSR_,comdat
.Lfunc_end23:
	.size	_ZN7rocprim17ROCPRIM_400000_NS6detail17trampoline_kernelINS0_14default_configENS1_22reduce_config_selectorI18summary_stats_dataIfEEEZNS1_11reduce_implILb1ES3_N6thrust23THRUST_200600_302600_NS11hip_rocprim26transform_input_iterator_tIS6_NSA_6detail15normal_iteratorINSA_10device_ptrIfEEEE22summary_stats_unary_opIfEEEPS6_S6_23summary_stats_binary_opIfEEE10hipError_tPvRmT1_T2_T3_mT4_P12ihipStream_tbEUlT_E0_NS1_11comp_targetILNS1_3genE10ELNS1_11target_archE1201ELNS1_3gpuE5ELNS1_3repE0EEENS1_30default_config_static_selectorELNS0_4arch9wavefront6targetE1EEEvSR_, .Lfunc_end23-_ZN7rocprim17ROCPRIM_400000_NS6detail17trampoline_kernelINS0_14default_configENS1_22reduce_config_selectorI18summary_stats_dataIfEEEZNS1_11reduce_implILb1ES3_N6thrust23THRUST_200600_302600_NS11hip_rocprim26transform_input_iterator_tIS6_NSA_6detail15normal_iteratorINSA_10device_ptrIfEEEE22summary_stats_unary_opIfEEEPS6_S6_23summary_stats_binary_opIfEEE10hipError_tPvRmT1_T2_T3_mT4_P12ihipStream_tbEUlT_E0_NS1_11comp_targetILNS1_3genE10ELNS1_11target_archE1201ELNS1_3gpuE5ELNS1_3repE0EEENS1_30default_config_static_selectorELNS0_4arch9wavefront6targetE1EEEvSR_
                                        ; -- End function
	.set _ZN7rocprim17ROCPRIM_400000_NS6detail17trampoline_kernelINS0_14default_configENS1_22reduce_config_selectorI18summary_stats_dataIfEEEZNS1_11reduce_implILb1ES3_N6thrust23THRUST_200600_302600_NS11hip_rocprim26transform_input_iterator_tIS6_NSA_6detail15normal_iteratorINSA_10device_ptrIfEEEE22summary_stats_unary_opIfEEEPS6_S6_23summary_stats_binary_opIfEEE10hipError_tPvRmT1_T2_T3_mT4_P12ihipStream_tbEUlT_E0_NS1_11comp_targetILNS1_3genE10ELNS1_11target_archE1201ELNS1_3gpuE5ELNS1_3repE0EEENS1_30default_config_static_selectorELNS0_4arch9wavefront6targetE1EEEvSR_.num_vgpr, 0
	.set _ZN7rocprim17ROCPRIM_400000_NS6detail17trampoline_kernelINS0_14default_configENS1_22reduce_config_selectorI18summary_stats_dataIfEEEZNS1_11reduce_implILb1ES3_N6thrust23THRUST_200600_302600_NS11hip_rocprim26transform_input_iterator_tIS6_NSA_6detail15normal_iteratorINSA_10device_ptrIfEEEE22summary_stats_unary_opIfEEEPS6_S6_23summary_stats_binary_opIfEEE10hipError_tPvRmT1_T2_T3_mT4_P12ihipStream_tbEUlT_E0_NS1_11comp_targetILNS1_3genE10ELNS1_11target_archE1201ELNS1_3gpuE5ELNS1_3repE0EEENS1_30default_config_static_selectorELNS0_4arch9wavefront6targetE1EEEvSR_.num_agpr, 0
	.set _ZN7rocprim17ROCPRIM_400000_NS6detail17trampoline_kernelINS0_14default_configENS1_22reduce_config_selectorI18summary_stats_dataIfEEEZNS1_11reduce_implILb1ES3_N6thrust23THRUST_200600_302600_NS11hip_rocprim26transform_input_iterator_tIS6_NSA_6detail15normal_iteratorINSA_10device_ptrIfEEEE22summary_stats_unary_opIfEEEPS6_S6_23summary_stats_binary_opIfEEE10hipError_tPvRmT1_T2_T3_mT4_P12ihipStream_tbEUlT_E0_NS1_11comp_targetILNS1_3genE10ELNS1_11target_archE1201ELNS1_3gpuE5ELNS1_3repE0EEENS1_30default_config_static_selectorELNS0_4arch9wavefront6targetE1EEEvSR_.numbered_sgpr, 0
	.set _ZN7rocprim17ROCPRIM_400000_NS6detail17trampoline_kernelINS0_14default_configENS1_22reduce_config_selectorI18summary_stats_dataIfEEEZNS1_11reduce_implILb1ES3_N6thrust23THRUST_200600_302600_NS11hip_rocprim26transform_input_iterator_tIS6_NSA_6detail15normal_iteratorINSA_10device_ptrIfEEEE22summary_stats_unary_opIfEEEPS6_S6_23summary_stats_binary_opIfEEE10hipError_tPvRmT1_T2_T3_mT4_P12ihipStream_tbEUlT_E0_NS1_11comp_targetILNS1_3genE10ELNS1_11target_archE1201ELNS1_3gpuE5ELNS1_3repE0EEENS1_30default_config_static_selectorELNS0_4arch9wavefront6targetE1EEEvSR_.num_named_barrier, 0
	.set _ZN7rocprim17ROCPRIM_400000_NS6detail17trampoline_kernelINS0_14default_configENS1_22reduce_config_selectorI18summary_stats_dataIfEEEZNS1_11reduce_implILb1ES3_N6thrust23THRUST_200600_302600_NS11hip_rocprim26transform_input_iterator_tIS6_NSA_6detail15normal_iteratorINSA_10device_ptrIfEEEE22summary_stats_unary_opIfEEEPS6_S6_23summary_stats_binary_opIfEEE10hipError_tPvRmT1_T2_T3_mT4_P12ihipStream_tbEUlT_E0_NS1_11comp_targetILNS1_3genE10ELNS1_11target_archE1201ELNS1_3gpuE5ELNS1_3repE0EEENS1_30default_config_static_selectorELNS0_4arch9wavefront6targetE1EEEvSR_.private_seg_size, 0
	.set _ZN7rocprim17ROCPRIM_400000_NS6detail17trampoline_kernelINS0_14default_configENS1_22reduce_config_selectorI18summary_stats_dataIfEEEZNS1_11reduce_implILb1ES3_N6thrust23THRUST_200600_302600_NS11hip_rocprim26transform_input_iterator_tIS6_NSA_6detail15normal_iteratorINSA_10device_ptrIfEEEE22summary_stats_unary_opIfEEEPS6_S6_23summary_stats_binary_opIfEEE10hipError_tPvRmT1_T2_T3_mT4_P12ihipStream_tbEUlT_E0_NS1_11comp_targetILNS1_3genE10ELNS1_11target_archE1201ELNS1_3gpuE5ELNS1_3repE0EEENS1_30default_config_static_selectorELNS0_4arch9wavefront6targetE1EEEvSR_.uses_vcc, 0
	.set _ZN7rocprim17ROCPRIM_400000_NS6detail17trampoline_kernelINS0_14default_configENS1_22reduce_config_selectorI18summary_stats_dataIfEEEZNS1_11reduce_implILb1ES3_N6thrust23THRUST_200600_302600_NS11hip_rocprim26transform_input_iterator_tIS6_NSA_6detail15normal_iteratorINSA_10device_ptrIfEEEE22summary_stats_unary_opIfEEEPS6_S6_23summary_stats_binary_opIfEEE10hipError_tPvRmT1_T2_T3_mT4_P12ihipStream_tbEUlT_E0_NS1_11comp_targetILNS1_3genE10ELNS1_11target_archE1201ELNS1_3gpuE5ELNS1_3repE0EEENS1_30default_config_static_selectorELNS0_4arch9wavefront6targetE1EEEvSR_.uses_flat_scratch, 0
	.set _ZN7rocprim17ROCPRIM_400000_NS6detail17trampoline_kernelINS0_14default_configENS1_22reduce_config_selectorI18summary_stats_dataIfEEEZNS1_11reduce_implILb1ES3_N6thrust23THRUST_200600_302600_NS11hip_rocprim26transform_input_iterator_tIS6_NSA_6detail15normal_iteratorINSA_10device_ptrIfEEEE22summary_stats_unary_opIfEEEPS6_S6_23summary_stats_binary_opIfEEE10hipError_tPvRmT1_T2_T3_mT4_P12ihipStream_tbEUlT_E0_NS1_11comp_targetILNS1_3genE10ELNS1_11target_archE1201ELNS1_3gpuE5ELNS1_3repE0EEENS1_30default_config_static_selectorELNS0_4arch9wavefront6targetE1EEEvSR_.has_dyn_sized_stack, 0
	.set _ZN7rocprim17ROCPRIM_400000_NS6detail17trampoline_kernelINS0_14default_configENS1_22reduce_config_selectorI18summary_stats_dataIfEEEZNS1_11reduce_implILb1ES3_N6thrust23THRUST_200600_302600_NS11hip_rocprim26transform_input_iterator_tIS6_NSA_6detail15normal_iteratorINSA_10device_ptrIfEEEE22summary_stats_unary_opIfEEEPS6_S6_23summary_stats_binary_opIfEEE10hipError_tPvRmT1_T2_T3_mT4_P12ihipStream_tbEUlT_E0_NS1_11comp_targetILNS1_3genE10ELNS1_11target_archE1201ELNS1_3gpuE5ELNS1_3repE0EEENS1_30default_config_static_selectorELNS0_4arch9wavefront6targetE1EEEvSR_.has_recursion, 0
	.set _ZN7rocprim17ROCPRIM_400000_NS6detail17trampoline_kernelINS0_14default_configENS1_22reduce_config_selectorI18summary_stats_dataIfEEEZNS1_11reduce_implILb1ES3_N6thrust23THRUST_200600_302600_NS11hip_rocprim26transform_input_iterator_tIS6_NSA_6detail15normal_iteratorINSA_10device_ptrIfEEEE22summary_stats_unary_opIfEEEPS6_S6_23summary_stats_binary_opIfEEE10hipError_tPvRmT1_T2_T3_mT4_P12ihipStream_tbEUlT_E0_NS1_11comp_targetILNS1_3genE10ELNS1_11target_archE1201ELNS1_3gpuE5ELNS1_3repE0EEENS1_30default_config_static_selectorELNS0_4arch9wavefront6targetE1EEEvSR_.has_indirect_call, 0
	.section	.AMDGPU.csdata,"",@progbits
; Kernel info:
; codeLenInByte = 0
; TotalNumSgprs: 4
; NumVgprs: 0
; ScratchSize: 0
; MemoryBound: 0
; FloatMode: 240
; IeeeMode: 1
; LDSByteSize: 0 bytes/workgroup (compile time only)
; SGPRBlocks: 0
; VGPRBlocks: 0
; NumSGPRsForWavesPerEU: 4
; NumVGPRsForWavesPerEU: 1
; Occupancy: 10
; WaveLimiterHint : 0
; COMPUTE_PGM_RSRC2:SCRATCH_EN: 0
; COMPUTE_PGM_RSRC2:USER_SGPR: 6
; COMPUTE_PGM_RSRC2:TRAP_HANDLER: 0
; COMPUTE_PGM_RSRC2:TGID_X_EN: 1
; COMPUTE_PGM_RSRC2:TGID_Y_EN: 0
; COMPUTE_PGM_RSRC2:TGID_Z_EN: 0
; COMPUTE_PGM_RSRC2:TIDIG_COMP_CNT: 0
	.section	.text._ZN7rocprim17ROCPRIM_400000_NS6detail17trampoline_kernelINS0_14default_configENS1_22reduce_config_selectorI18summary_stats_dataIfEEEZNS1_11reduce_implILb1ES3_N6thrust23THRUST_200600_302600_NS11hip_rocprim26transform_input_iterator_tIS6_NSA_6detail15normal_iteratorINSA_10device_ptrIfEEEE22summary_stats_unary_opIfEEEPS6_S6_23summary_stats_binary_opIfEEE10hipError_tPvRmT1_T2_T3_mT4_P12ihipStream_tbEUlT_E0_NS1_11comp_targetILNS1_3genE10ELNS1_11target_archE1200ELNS1_3gpuE4ELNS1_3repE0EEENS1_30default_config_static_selectorELNS0_4arch9wavefront6targetE1EEEvSR_,"axG",@progbits,_ZN7rocprim17ROCPRIM_400000_NS6detail17trampoline_kernelINS0_14default_configENS1_22reduce_config_selectorI18summary_stats_dataIfEEEZNS1_11reduce_implILb1ES3_N6thrust23THRUST_200600_302600_NS11hip_rocprim26transform_input_iterator_tIS6_NSA_6detail15normal_iteratorINSA_10device_ptrIfEEEE22summary_stats_unary_opIfEEEPS6_S6_23summary_stats_binary_opIfEEE10hipError_tPvRmT1_T2_T3_mT4_P12ihipStream_tbEUlT_E0_NS1_11comp_targetILNS1_3genE10ELNS1_11target_archE1200ELNS1_3gpuE4ELNS1_3repE0EEENS1_30default_config_static_selectorELNS0_4arch9wavefront6targetE1EEEvSR_,comdat
	.protected	_ZN7rocprim17ROCPRIM_400000_NS6detail17trampoline_kernelINS0_14default_configENS1_22reduce_config_selectorI18summary_stats_dataIfEEEZNS1_11reduce_implILb1ES3_N6thrust23THRUST_200600_302600_NS11hip_rocprim26transform_input_iterator_tIS6_NSA_6detail15normal_iteratorINSA_10device_ptrIfEEEE22summary_stats_unary_opIfEEEPS6_S6_23summary_stats_binary_opIfEEE10hipError_tPvRmT1_T2_T3_mT4_P12ihipStream_tbEUlT_E0_NS1_11comp_targetILNS1_3genE10ELNS1_11target_archE1200ELNS1_3gpuE4ELNS1_3repE0EEENS1_30default_config_static_selectorELNS0_4arch9wavefront6targetE1EEEvSR_ ; -- Begin function _ZN7rocprim17ROCPRIM_400000_NS6detail17trampoline_kernelINS0_14default_configENS1_22reduce_config_selectorI18summary_stats_dataIfEEEZNS1_11reduce_implILb1ES3_N6thrust23THRUST_200600_302600_NS11hip_rocprim26transform_input_iterator_tIS6_NSA_6detail15normal_iteratorINSA_10device_ptrIfEEEE22summary_stats_unary_opIfEEEPS6_S6_23summary_stats_binary_opIfEEE10hipError_tPvRmT1_T2_T3_mT4_P12ihipStream_tbEUlT_E0_NS1_11comp_targetILNS1_3genE10ELNS1_11target_archE1200ELNS1_3gpuE4ELNS1_3repE0EEENS1_30default_config_static_selectorELNS0_4arch9wavefront6targetE1EEEvSR_
	.globl	_ZN7rocprim17ROCPRIM_400000_NS6detail17trampoline_kernelINS0_14default_configENS1_22reduce_config_selectorI18summary_stats_dataIfEEEZNS1_11reduce_implILb1ES3_N6thrust23THRUST_200600_302600_NS11hip_rocprim26transform_input_iterator_tIS6_NSA_6detail15normal_iteratorINSA_10device_ptrIfEEEE22summary_stats_unary_opIfEEEPS6_S6_23summary_stats_binary_opIfEEE10hipError_tPvRmT1_T2_T3_mT4_P12ihipStream_tbEUlT_E0_NS1_11comp_targetILNS1_3genE10ELNS1_11target_archE1200ELNS1_3gpuE4ELNS1_3repE0EEENS1_30default_config_static_selectorELNS0_4arch9wavefront6targetE1EEEvSR_
	.p2align	8
	.type	_ZN7rocprim17ROCPRIM_400000_NS6detail17trampoline_kernelINS0_14default_configENS1_22reduce_config_selectorI18summary_stats_dataIfEEEZNS1_11reduce_implILb1ES3_N6thrust23THRUST_200600_302600_NS11hip_rocprim26transform_input_iterator_tIS6_NSA_6detail15normal_iteratorINSA_10device_ptrIfEEEE22summary_stats_unary_opIfEEEPS6_S6_23summary_stats_binary_opIfEEE10hipError_tPvRmT1_T2_T3_mT4_P12ihipStream_tbEUlT_E0_NS1_11comp_targetILNS1_3genE10ELNS1_11target_archE1200ELNS1_3gpuE4ELNS1_3repE0EEENS1_30default_config_static_selectorELNS0_4arch9wavefront6targetE1EEEvSR_,@function
_ZN7rocprim17ROCPRIM_400000_NS6detail17trampoline_kernelINS0_14default_configENS1_22reduce_config_selectorI18summary_stats_dataIfEEEZNS1_11reduce_implILb1ES3_N6thrust23THRUST_200600_302600_NS11hip_rocprim26transform_input_iterator_tIS6_NSA_6detail15normal_iteratorINSA_10device_ptrIfEEEE22summary_stats_unary_opIfEEEPS6_S6_23summary_stats_binary_opIfEEE10hipError_tPvRmT1_T2_T3_mT4_P12ihipStream_tbEUlT_E0_NS1_11comp_targetILNS1_3genE10ELNS1_11target_archE1200ELNS1_3gpuE4ELNS1_3repE0EEENS1_30default_config_static_selectorELNS0_4arch9wavefront6targetE1EEEvSR_: ; @_ZN7rocprim17ROCPRIM_400000_NS6detail17trampoline_kernelINS0_14default_configENS1_22reduce_config_selectorI18summary_stats_dataIfEEEZNS1_11reduce_implILb1ES3_N6thrust23THRUST_200600_302600_NS11hip_rocprim26transform_input_iterator_tIS6_NSA_6detail15normal_iteratorINSA_10device_ptrIfEEEE22summary_stats_unary_opIfEEEPS6_S6_23summary_stats_binary_opIfEEE10hipError_tPvRmT1_T2_T3_mT4_P12ihipStream_tbEUlT_E0_NS1_11comp_targetILNS1_3genE10ELNS1_11target_archE1200ELNS1_3gpuE4ELNS1_3repE0EEENS1_30default_config_static_selectorELNS0_4arch9wavefront6targetE1EEEvSR_
; %bb.0:
	.section	.rodata,"a",@progbits
	.p2align	6, 0x0
	.amdhsa_kernel _ZN7rocprim17ROCPRIM_400000_NS6detail17trampoline_kernelINS0_14default_configENS1_22reduce_config_selectorI18summary_stats_dataIfEEEZNS1_11reduce_implILb1ES3_N6thrust23THRUST_200600_302600_NS11hip_rocprim26transform_input_iterator_tIS6_NSA_6detail15normal_iteratorINSA_10device_ptrIfEEEE22summary_stats_unary_opIfEEEPS6_S6_23summary_stats_binary_opIfEEE10hipError_tPvRmT1_T2_T3_mT4_P12ihipStream_tbEUlT_E0_NS1_11comp_targetILNS1_3genE10ELNS1_11target_archE1200ELNS1_3gpuE4ELNS1_3repE0EEENS1_30default_config_static_selectorELNS0_4arch9wavefront6targetE1EEEvSR_
		.amdhsa_group_segment_fixed_size 0
		.amdhsa_private_segment_fixed_size 0
		.amdhsa_kernarg_size 88
		.amdhsa_user_sgpr_count 6
		.amdhsa_user_sgpr_private_segment_buffer 1
		.amdhsa_user_sgpr_dispatch_ptr 0
		.amdhsa_user_sgpr_queue_ptr 0
		.amdhsa_user_sgpr_kernarg_segment_ptr 1
		.amdhsa_user_sgpr_dispatch_id 0
		.amdhsa_user_sgpr_flat_scratch_init 0
		.amdhsa_user_sgpr_private_segment_size 0
		.amdhsa_uses_dynamic_stack 0
		.amdhsa_system_sgpr_private_segment_wavefront_offset 0
		.amdhsa_system_sgpr_workgroup_id_x 1
		.amdhsa_system_sgpr_workgroup_id_y 0
		.amdhsa_system_sgpr_workgroup_id_z 0
		.amdhsa_system_sgpr_workgroup_info 0
		.amdhsa_system_vgpr_workitem_id 0
		.amdhsa_next_free_vgpr 1
		.amdhsa_next_free_sgpr 0
		.amdhsa_reserve_vcc 0
		.amdhsa_reserve_flat_scratch 0
		.amdhsa_float_round_mode_32 0
		.amdhsa_float_round_mode_16_64 0
		.amdhsa_float_denorm_mode_32 3
		.amdhsa_float_denorm_mode_16_64 3
		.amdhsa_dx10_clamp 1
		.amdhsa_ieee_mode 1
		.amdhsa_fp16_overflow 0
		.amdhsa_exception_fp_ieee_invalid_op 0
		.amdhsa_exception_fp_denorm_src 0
		.amdhsa_exception_fp_ieee_div_zero 0
		.amdhsa_exception_fp_ieee_overflow 0
		.amdhsa_exception_fp_ieee_underflow 0
		.amdhsa_exception_fp_ieee_inexact 0
		.amdhsa_exception_int_div_zero 0
	.end_amdhsa_kernel
	.section	.text._ZN7rocprim17ROCPRIM_400000_NS6detail17trampoline_kernelINS0_14default_configENS1_22reduce_config_selectorI18summary_stats_dataIfEEEZNS1_11reduce_implILb1ES3_N6thrust23THRUST_200600_302600_NS11hip_rocprim26transform_input_iterator_tIS6_NSA_6detail15normal_iteratorINSA_10device_ptrIfEEEE22summary_stats_unary_opIfEEEPS6_S6_23summary_stats_binary_opIfEEE10hipError_tPvRmT1_T2_T3_mT4_P12ihipStream_tbEUlT_E0_NS1_11comp_targetILNS1_3genE10ELNS1_11target_archE1200ELNS1_3gpuE4ELNS1_3repE0EEENS1_30default_config_static_selectorELNS0_4arch9wavefront6targetE1EEEvSR_,"axG",@progbits,_ZN7rocprim17ROCPRIM_400000_NS6detail17trampoline_kernelINS0_14default_configENS1_22reduce_config_selectorI18summary_stats_dataIfEEEZNS1_11reduce_implILb1ES3_N6thrust23THRUST_200600_302600_NS11hip_rocprim26transform_input_iterator_tIS6_NSA_6detail15normal_iteratorINSA_10device_ptrIfEEEE22summary_stats_unary_opIfEEEPS6_S6_23summary_stats_binary_opIfEEE10hipError_tPvRmT1_T2_T3_mT4_P12ihipStream_tbEUlT_E0_NS1_11comp_targetILNS1_3genE10ELNS1_11target_archE1200ELNS1_3gpuE4ELNS1_3repE0EEENS1_30default_config_static_selectorELNS0_4arch9wavefront6targetE1EEEvSR_,comdat
.Lfunc_end24:
	.size	_ZN7rocprim17ROCPRIM_400000_NS6detail17trampoline_kernelINS0_14default_configENS1_22reduce_config_selectorI18summary_stats_dataIfEEEZNS1_11reduce_implILb1ES3_N6thrust23THRUST_200600_302600_NS11hip_rocprim26transform_input_iterator_tIS6_NSA_6detail15normal_iteratorINSA_10device_ptrIfEEEE22summary_stats_unary_opIfEEEPS6_S6_23summary_stats_binary_opIfEEE10hipError_tPvRmT1_T2_T3_mT4_P12ihipStream_tbEUlT_E0_NS1_11comp_targetILNS1_3genE10ELNS1_11target_archE1200ELNS1_3gpuE4ELNS1_3repE0EEENS1_30default_config_static_selectorELNS0_4arch9wavefront6targetE1EEEvSR_, .Lfunc_end24-_ZN7rocprim17ROCPRIM_400000_NS6detail17trampoline_kernelINS0_14default_configENS1_22reduce_config_selectorI18summary_stats_dataIfEEEZNS1_11reduce_implILb1ES3_N6thrust23THRUST_200600_302600_NS11hip_rocprim26transform_input_iterator_tIS6_NSA_6detail15normal_iteratorINSA_10device_ptrIfEEEE22summary_stats_unary_opIfEEEPS6_S6_23summary_stats_binary_opIfEEE10hipError_tPvRmT1_T2_T3_mT4_P12ihipStream_tbEUlT_E0_NS1_11comp_targetILNS1_3genE10ELNS1_11target_archE1200ELNS1_3gpuE4ELNS1_3repE0EEENS1_30default_config_static_selectorELNS0_4arch9wavefront6targetE1EEEvSR_
                                        ; -- End function
	.set _ZN7rocprim17ROCPRIM_400000_NS6detail17trampoline_kernelINS0_14default_configENS1_22reduce_config_selectorI18summary_stats_dataIfEEEZNS1_11reduce_implILb1ES3_N6thrust23THRUST_200600_302600_NS11hip_rocprim26transform_input_iterator_tIS6_NSA_6detail15normal_iteratorINSA_10device_ptrIfEEEE22summary_stats_unary_opIfEEEPS6_S6_23summary_stats_binary_opIfEEE10hipError_tPvRmT1_T2_T3_mT4_P12ihipStream_tbEUlT_E0_NS1_11comp_targetILNS1_3genE10ELNS1_11target_archE1200ELNS1_3gpuE4ELNS1_3repE0EEENS1_30default_config_static_selectorELNS0_4arch9wavefront6targetE1EEEvSR_.num_vgpr, 0
	.set _ZN7rocprim17ROCPRIM_400000_NS6detail17trampoline_kernelINS0_14default_configENS1_22reduce_config_selectorI18summary_stats_dataIfEEEZNS1_11reduce_implILb1ES3_N6thrust23THRUST_200600_302600_NS11hip_rocprim26transform_input_iterator_tIS6_NSA_6detail15normal_iteratorINSA_10device_ptrIfEEEE22summary_stats_unary_opIfEEEPS6_S6_23summary_stats_binary_opIfEEE10hipError_tPvRmT1_T2_T3_mT4_P12ihipStream_tbEUlT_E0_NS1_11comp_targetILNS1_3genE10ELNS1_11target_archE1200ELNS1_3gpuE4ELNS1_3repE0EEENS1_30default_config_static_selectorELNS0_4arch9wavefront6targetE1EEEvSR_.num_agpr, 0
	.set _ZN7rocprim17ROCPRIM_400000_NS6detail17trampoline_kernelINS0_14default_configENS1_22reduce_config_selectorI18summary_stats_dataIfEEEZNS1_11reduce_implILb1ES3_N6thrust23THRUST_200600_302600_NS11hip_rocprim26transform_input_iterator_tIS6_NSA_6detail15normal_iteratorINSA_10device_ptrIfEEEE22summary_stats_unary_opIfEEEPS6_S6_23summary_stats_binary_opIfEEE10hipError_tPvRmT1_T2_T3_mT4_P12ihipStream_tbEUlT_E0_NS1_11comp_targetILNS1_3genE10ELNS1_11target_archE1200ELNS1_3gpuE4ELNS1_3repE0EEENS1_30default_config_static_selectorELNS0_4arch9wavefront6targetE1EEEvSR_.numbered_sgpr, 0
	.set _ZN7rocprim17ROCPRIM_400000_NS6detail17trampoline_kernelINS0_14default_configENS1_22reduce_config_selectorI18summary_stats_dataIfEEEZNS1_11reduce_implILb1ES3_N6thrust23THRUST_200600_302600_NS11hip_rocprim26transform_input_iterator_tIS6_NSA_6detail15normal_iteratorINSA_10device_ptrIfEEEE22summary_stats_unary_opIfEEEPS6_S6_23summary_stats_binary_opIfEEE10hipError_tPvRmT1_T2_T3_mT4_P12ihipStream_tbEUlT_E0_NS1_11comp_targetILNS1_3genE10ELNS1_11target_archE1200ELNS1_3gpuE4ELNS1_3repE0EEENS1_30default_config_static_selectorELNS0_4arch9wavefront6targetE1EEEvSR_.num_named_barrier, 0
	.set _ZN7rocprim17ROCPRIM_400000_NS6detail17trampoline_kernelINS0_14default_configENS1_22reduce_config_selectorI18summary_stats_dataIfEEEZNS1_11reduce_implILb1ES3_N6thrust23THRUST_200600_302600_NS11hip_rocprim26transform_input_iterator_tIS6_NSA_6detail15normal_iteratorINSA_10device_ptrIfEEEE22summary_stats_unary_opIfEEEPS6_S6_23summary_stats_binary_opIfEEE10hipError_tPvRmT1_T2_T3_mT4_P12ihipStream_tbEUlT_E0_NS1_11comp_targetILNS1_3genE10ELNS1_11target_archE1200ELNS1_3gpuE4ELNS1_3repE0EEENS1_30default_config_static_selectorELNS0_4arch9wavefront6targetE1EEEvSR_.private_seg_size, 0
	.set _ZN7rocprim17ROCPRIM_400000_NS6detail17trampoline_kernelINS0_14default_configENS1_22reduce_config_selectorI18summary_stats_dataIfEEEZNS1_11reduce_implILb1ES3_N6thrust23THRUST_200600_302600_NS11hip_rocprim26transform_input_iterator_tIS6_NSA_6detail15normal_iteratorINSA_10device_ptrIfEEEE22summary_stats_unary_opIfEEEPS6_S6_23summary_stats_binary_opIfEEE10hipError_tPvRmT1_T2_T3_mT4_P12ihipStream_tbEUlT_E0_NS1_11comp_targetILNS1_3genE10ELNS1_11target_archE1200ELNS1_3gpuE4ELNS1_3repE0EEENS1_30default_config_static_selectorELNS0_4arch9wavefront6targetE1EEEvSR_.uses_vcc, 0
	.set _ZN7rocprim17ROCPRIM_400000_NS6detail17trampoline_kernelINS0_14default_configENS1_22reduce_config_selectorI18summary_stats_dataIfEEEZNS1_11reduce_implILb1ES3_N6thrust23THRUST_200600_302600_NS11hip_rocprim26transform_input_iterator_tIS6_NSA_6detail15normal_iteratorINSA_10device_ptrIfEEEE22summary_stats_unary_opIfEEEPS6_S6_23summary_stats_binary_opIfEEE10hipError_tPvRmT1_T2_T3_mT4_P12ihipStream_tbEUlT_E0_NS1_11comp_targetILNS1_3genE10ELNS1_11target_archE1200ELNS1_3gpuE4ELNS1_3repE0EEENS1_30default_config_static_selectorELNS0_4arch9wavefront6targetE1EEEvSR_.uses_flat_scratch, 0
	.set _ZN7rocprim17ROCPRIM_400000_NS6detail17trampoline_kernelINS0_14default_configENS1_22reduce_config_selectorI18summary_stats_dataIfEEEZNS1_11reduce_implILb1ES3_N6thrust23THRUST_200600_302600_NS11hip_rocprim26transform_input_iterator_tIS6_NSA_6detail15normal_iteratorINSA_10device_ptrIfEEEE22summary_stats_unary_opIfEEEPS6_S6_23summary_stats_binary_opIfEEE10hipError_tPvRmT1_T2_T3_mT4_P12ihipStream_tbEUlT_E0_NS1_11comp_targetILNS1_3genE10ELNS1_11target_archE1200ELNS1_3gpuE4ELNS1_3repE0EEENS1_30default_config_static_selectorELNS0_4arch9wavefront6targetE1EEEvSR_.has_dyn_sized_stack, 0
	.set _ZN7rocprim17ROCPRIM_400000_NS6detail17trampoline_kernelINS0_14default_configENS1_22reduce_config_selectorI18summary_stats_dataIfEEEZNS1_11reduce_implILb1ES3_N6thrust23THRUST_200600_302600_NS11hip_rocprim26transform_input_iterator_tIS6_NSA_6detail15normal_iteratorINSA_10device_ptrIfEEEE22summary_stats_unary_opIfEEEPS6_S6_23summary_stats_binary_opIfEEE10hipError_tPvRmT1_T2_T3_mT4_P12ihipStream_tbEUlT_E0_NS1_11comp_targetILNS1_3genE10ELNS1_11target_archE1200ELNS1_3gpuE4ELNS1_3repE0EEENS1_30default_config_static_selectorELNS0_4arch9wavefront6targetE1EEEvSR_.has_recursion, 0
	.set _ZN7rocprim17ROCPRIM_400000_NS6detail17trampoline_kernelINS0_14default_configENS1_22reduce_config_selectorI18summary_stats_dataIfEEEZNS1_11reduce_implILb1ES3_N6thrust23THRUST_200600_302600_NS11hip_rocprim26transform_input_iterator_tIS6_NSA_6detail15normal_iteratorINSA_10device_ptrIfEEEE22summary_stats_unary_opIfEEEPS6_S6_23summary_stats_binary_opIfEEE10hipError_tPvRmT1_T2_T3_mT4_P12ihipStream_tbEUlT_E0_NS1_11comp_targetILNS1_3genE10ELNS1_11target_archE1200ELNS1_3gpuE4ELNS1_3repE0EEENS1_30default_config_static_selectorELNS0_4arch9wavefront6targetE1EEEvSR_.has_indirect_call, 0
	.section	.AMDGPU.csdata,"",@progbits
; Kernel info:
; codeLenInByte = 0
; TotalNumSgprs: 4
; NumVgprs: 0
; ScratchSize: 0
; MemoryBound: 0
; FloatMode: 240
; IeeeMode: 1
; LDSByteSize: 0 bytes/workgroup (compile time only)
; SGPRBlocks: 0
; VGPRBlocks: 0
; NumSGPRsForWavesPerEU: 4
; NumVGPRsForWavesPerEU: 1
; Occupancy: 10
; WaveLimiterHint : 0
; COMPUTE_PGM_RSRC2:SCRATCH_EN: 0
; COMPUTE_PGM_RSRC2:USER_SGPR: 6
; COMPUTE_PGM_RSRC2:TRAP_HANDLER: 0
; COMPUTE_PGM_RSRC2:TGID_X_EN: 1
; COMPUTE_PGM_RSRC2:TGID_Y_EN: 0
; COMPUTE_PGM_RSRC2:TGID_Z_EN: 0
; COMPUTE_PGM_RSRC2:TIDIG_COMP_CNT: 0
	.section	.text._ZN7rocprim17ROCPRIM_400000_NS6detail17trampoline_kernelINS0_14default_configENS1_22reduce_config_selectorI18summary_stats_dataIfEEEZNS1_11reduce_implILb1ES3_N6thrust23THRUST_200600_302600_NS11hip_rocprim26transform_input_iterator_tIS6_NSA_6detail15normal_iteratorINSA_10device_ptrIfEEEE22summary_stats_unary_opIfEEEPS6_S6_23summary_stats_binary_opIfEEE10hipError_tPvRmT1_T2_T3_mT4_P12ihipStream_tbEUlT_E0_NS1_11comp_targetILNS1_3genE9ELNS1_11target_archE1100ELNS1_3gpuE3ELNS1_3repE0EEENS1_30default_config_static_selectorELNS0_4arch9wavefront6targetE1EEEvSR_,"axG",@progbits,_ZN7rocprim17ROCPRIM_400000_NS6detail17trampoline_kernelINS0_14default_configENS1_22reduce_config_selectorI18summary_stats_dataIfEEEZNS1_11reduce_implILb1ES3_N6thrust23THRUST_200600_302600_NS11hip_rocprim26transform_input_iterator_tIS6_NSA_6detail15normal_iteratorINSA_10device_ptrIfEEEE22summary_stats_unary_opIfEEEPS6_S6_23summary_stats_binary_opIfEEE10hipError_tPvRmT1_T2_T3_mT4_P12ihipStream_tbEUlT_E0_NS1_11comp_targetILNS1_3genE9ELNS1_11target_archE1100ELNS1_3gpuE3ELNS1_3repE0EEENS1_30default_config_static_selectorELNS0_4arch9wavefront6targetE1EEEvSR_,comdat
	.protected	_ZN7rocprim17ROCPRIM_400000_NS6detail17trampoline_kernelINS0_14default_configENS1_22reduce_config_selectorI18summary_stats_dataIfEEEZNS1_11reduce_implILb1ES3_N6thrust23THRUST_200600_302600_NS11hip_rocprim26transform_input_iterator_tIS6_NSA_6detail15normal_iteratorINSA_10device_ptrIfEEEE22summary_stats_unary_opIfEEEPS6_S6_23summary_stats_binary_opIfEEE10hipError_tPvRmT1_T2_T3_mT4_P12ihipStream_tbEUlT_E0_NS1_11comp_targetILNS1_3genE9ELNS1_11target_archE1100ELNS1_3gpuE3ELNS1_3repE0EEENS1_30default_config_static_selectorELNS0_4arch9wavefront6targetE1EEEvSR_ ; -- Begin function _ZN7rocprim17ROCPRIM_400000_NS6detail17trampoline_kernelINS0_14default_configENS1_22reduce_config_selectorI18summary_stats_dataIfEEEZNS1_11reduce_implILb1ES3_N6thrust23THRUST_200600_302600_NS11hip_rocprim26transform_input_iterator_tIS6_NSA_6detail15normal_iteratorINSA_10device_ptrIfEEEE22summary_stats_unary_opIfEEEPS6_S6_23summary_stats_binary_opIfEEE10hipError_tPvRmT1_T2_T3_mT4_P12ihipStream_tbEUlT_E0_NS1_11comp_targetILNS1_3genE9ELNS1_11target_archE1100ELNS1_3gpuE3ELNS1_3repE0EEENS1_30default_config_static_selectorELNS0_4arch9wavefront6targetE1EEEvSR_
	.globl	_ZN7rocprim17ROCPRIM_400000_NS6detail17trampoline_kernelINS0_14default_configENS1_22reduce_config_selectorI18summary_stats_dataIfEEEZNS1_11reduce_implILb1ES3_N6thrust23THRUST_200600_302600_NS11hip_rocprim26transform_input_iterator_tIS6_NSA_6detail15normal_iteratorINSA_10device_ptrIfEEEE22summary_stats_unary_opIfEEEPS6_S6_23summary_stats_binary_opIfEEE10hipError_tPvRmT1_T2_T3_mT4_P12ihipStream_tbEUlT_E0_NS1_11comp_targetILNS1_3genE9ELNS1_11target_archE1100ELNS1_3gpuE3ELNS1_3repE0EEENS1_30default_config_static_selectorELNS0_4arch9wavefront6targetE1EEEvSR_
	.p2align	8
	.type	_ZN7rocprim17ROCPRIM_400000_NS6detail17trampoline_kernelINS0_14default_configENS1_22reduce_config_selectorI18summary_stats_dataIfEEEZNS1_11reduce_implILb1ES3_N6thrust23THRUST_200600_302600_NS11hip_rocprim26transform_input_iterator_tIS6_NSA_6detail15normal_iteratorINSA_10device_ptrIfEEEE22summary_stats_unary_opIfEEEPS6_S6_23summary_stats_binary_opIfEEE10hipError_tPvRmT1_T2_T3_mT4_P12ihipStream_tbEUlT_E0_NS1_11comp_targetILNS1_3genE9ELNS1_11target_archE1100ELNS1_3gpuE3ELNS1_3repE0EEENS1_30default_config_static_selectorELNS0_4arch9wavefront6targetE1EEEvSR_,@function
_ZN7rocprim17ROCPRIM_400000_NS6detail17trampoline_kernelINS0_14default_configENS1_22reduce_config_selectorI18summary_stats_dataIfEEEZNS1_11reduce_implILb1ES3_N6thrust23THRUST_200600_302600_NS11hip_rocprim26transform_input_iterator_tIS6_NSA_6detail15normal_iteratorINSA_10device_ptrIfEEEE22summary_stats_unary_opIfEEEPS6_S6_23summary_stats_binary_opIfEEE10hipError_tPvRmT1_T2_T3_mT4_P12ihipStream_tbEUlT_E0_NS1_11comp_targetILNS1_3genE9ELNS1_11target_archE1100ELNS1_3gpuE3ELNS1_3repE0EEENS1_30default_config_static_selectorELNS0_4arch9wavefront6targetE1EEEvSR_: ; @_ZN7rocprim17ROCPRIM_400000_NS6detail17trampoline_kernelINS0_14default_configENS1_22reduce_config_selectorI18summary_stats_dataIfEEEZNS1_11reduce_implILb1ES3_N6thrust23THRUST_200600_302600_NS11hip_rocprim26transform_input_iterator_tIS6_NSA_6detail15normal_iteratorINSA_10device_ptrIfEEEE22summary_stats_unary_opIfEEEPS6_S6_23summary_stats_binary_opIfEEE10hipError_tPvRmT1_T2_T3_mT4_P12ihipStream_tbEUlT_E0_NS1_11comp_targetILNS1_3genE9ELNS1_11target_archE1100ELNS1_3gpuE3ELNS1_3repE0EEENS1_30default_config_static_selectorELNS0_4arch9wavefront6targetE1EEEvSR_
; %bb.0:
	.section	.rodata,"a",@progbits
	.p2align	6, 0x0
	.amdhsa_kernel _ZN7rocprim17ROCPRIM_400000_NS6detail17trampoline_kernelINS0_14default_configENS1_22reduce_config_selectorI18summary_stats_dataIfEEEZNS1_11reduce_implILb1ES3_N6thrust23THRUST_200600_302600_NS11hip_rocprim26transform_input_iterator_tIS6_NSA_6detail15normal_iteratorINSA_10device_ptrIfEEEE22summary_stats_unary_opIfEEEPS6_S6_23summary_stats_binary_opIfEEE10hipError_tPvRmT1_T2_T3_mT4_P12ihipStream_tbEUlT_E0_NS1_11comp_targetILNS1_3genE9ELNS1_11target_archE1100ELNS1_3gpuE3ELNS1_3repE0EEENS1_30default_config_static_selectorELNS0_4arch9wavefront6targetE1EEEvSR_
		.amdhsa_group_segment_fixed_size 0
		.amdhsa_private_segment_fixed_size 0
		.amdhsa_kernarg_size 88
		.amdhsa_user_sgpr_count 6
		.amdhsa_user_sgpr_private_segment_buffer 1
		.amdhsa_user_sgpr_dispatch_ptr 0
		.amdhsa_user_sgpr_queue_ptr 0
		.amdhsa_user_sgpr_kernarg_segment_ptr 1
		.amdhsa_user_sgpr_dispatch_id 0
		.amdhsa_user_sgpr_flat_scratch_init 0
		.amdhsa_user_sgpr_private_segment_size 0
		.amdhsa_uses_dynamic_stack 0
		.amdhsa_system_sgpr_private_segment_wavefront_offset 0
		.amdhsa_system_sgpr_workgroup_id_x 1
		.amdhsa_system_sgpr_workgroup_id_y 0
		.amdhsa_system_sgpr_workgroup_id_z 0
		.amdhsa_system_sgpr_workgroup_info 0
		.amdhsa_system_vgpr_workitem_id 0
		.amdhsa_next_free_vgpr 1
		.amdhsa_next_free_sgpr 0
		.amdhsa_reserve_vcc 0
		.amdhsa_reserve_flat_scratch 0
		.amdhsa_float_round_mode_32 0
		.amdhsa_float_round_mode_16_64 0
		.amdhsa_float_denorm_mode_32 3
		.amdhsa_float_denorm_mode_16_64 3
		.amdhsa_dx10_clamp 1
		.amdhsa_ieee_mode 1
		.amdhsa_fp16_overflow 0
		.amdhsa_exception_fp_ieee_invalid_op 0
		.amdhsa_exception_fp_denorm_src 0
		.amdhsa_exception_fp_ieee_div_zero 0
		.amdhsa_exception_fp_ieee_overflow 0
		.amdhsa_exception_fp_ieee_underflow 0
		.amdhsa_exception_fp_ieee_inexact 0
		.amdhsa_exception_int_div_zero 0
	.end_amdhsa_kernel
	.section	.text._ZN7rocprim17ROCPRIM_400000_NS6detail17trampoline_kernelINS0_14default_configENS1_22reduce_config_selectorI18summary_stats_dataIfEEEZNS1_11reduce_implILb1ES3_N6thrust23THRUST_200600_302600_NS11hip_rocprim26transform_input_iterator_tIS6_NSA_6detail15normal_iteratorINSA_10device_ptrIfEEEE22summary_stats_unary_opIfEEEPS6_S6_23summary_stats_binary_opIfEEE10hipError_tPvRmT1_T2_T3_mT4_P12ihipStream_tbEUlT_E0_NS1_11comp_targetILNS1_3genE9ELNS1_11target_archE1100ELNS1_3gpuE3ELNS1_3repE0EEENS1_30default_config_static_selectorELNS0_4arch9wavefront6targetE1EEEvSR_,"axG",@progbits,_ZN7rocprim17ROCPRIM_400000_NS6detail17trampoline_kernelINS0_14default_configENS1_22reduce_config_selectorI18summary_stats_dataIfEEEZNS1_11reduce_implILb1ES3_N6thrust23THRUST_200600_302600_NS11hip_rocprim26transform_input_iterator_tIS6_NSA_6detail15normal_iteratorINSA_10device_ptrIfEEEE22summary_stats_unary_opIfEEEPS6_S6_23summary_stats_binary_opIfEEE10hipError_tPvRmT1_T2_T3_mT4_P12ihipStream_tbEUlT_E0_NS1_11comp_targetILNS1_3genE9ELNS1_11target_archE1100ELNS1_3gpuE3ELNS1_3repE0EEENS1_30default_config_static_selectorELNS0_4arch9wavefront6targetE1EEEvSR_,comdat
.Lfunc_end25:
	.size	_ZN7rocprim17ROCPRIM_400000_NS6detail17trampoline_kernelINS0_14default_configENS1_22reduce_config_selectorI18summary_stats_dataIfEEEZNS1_11reduce_implILb1ES3_N6thrust23THRUST_200600_302600_NS11hip_rocprim26transform_input_iterator_tIS6_NSA_6detail15normal_iteratorINSA_10device_ptrIfEEEE22summary_stats_unary_opIfEEEPS6_S6_23summary_stats_binary_opIfEEE10hipError_tPvRmT1_T2_T3_mT4_P12ihipStream_tbEUlT_E0_NS1_11comp_targetILNS1_3genE9ELNS1_11target_archE1100ELNS1_3gpuE3ELNS1_3repE0EEENS1_30default_config_static_selectorELNS0_4arch9wavefront6targetE1EEEvSR_, .Lfunc_end25-_ZN7rocprim17ROCPRIM_400000_NS6detail17trampoline_kernelINS0_14default_configENS1_22reduce_config_selectorI18summary_stats_dataIfEEEZNS1_11reduce_implILb1ES3_N6thrust23THRUST_200600_302600_NS11hip_rocprim26transform_input_iterator_tIS6_NSA_6detail15normal_iteratorINSA_10device_ptrIfEEEE22summary_stats_unary_opIfEEEPS6_S6_23summary_stats_binary_opIfEEE10hipError_tPvRmT1_T2_T3_mT4_P12ihipStream_tbEUlT_E0_NS1_11comp_targetILNS1_3genE9ELNS1_11target_archE1100ELNS1_3gpuE3ELNS1_3repE0EEENS1_30default_config_static_selectorELNS0_4arch9wavefront6targetE1EEEvSR_
                                        ; -- End function
	.set _ZN7rocprim17ROCPRIM_400000_NS6detail17trampoline_kernelINS0_14default_configENS1_22reduce_config_selectorI18summary_stats_dataIfEEEZNS1_11reduce_implILb1ES3_N6thrust23THRUST_200600_302600_NS11hip_rocprim26transform_input_iterator_tIS6_NSA_6detail15normal_iteratorINSA_10device_ptrIfEEEE22summary_stats_unary_opIfEEEPS6_S6_23summary_stats_binary_opIfEEE10hipError_tPvRmT1_T2_T3_mT4_P12ihipStream_tbEUlT_E0_NS1_11comp_targetILNS1_3genE9ELNS1_11target_archE1100ELNS1_3gpuE3ELNS1_3repE0EEENS1_30default_config_static_selectorELNS0_4arch9wavefront6targetE1EEEvSR_.num_vgpr, 0
	.set _ZN7rocprim17ROCPRIM_400000_NS6detail17trampoline_kernelINS0_14default_configENS1_22reduce_config_selectorI18summary_stats_dataIfEEEZNS1_11reduce_implILb1ES3_N6thrust23THRUST_200600_302600_NS11hip_rocprim26transform_input_iterator_tIS6_NSA_6detail15normal_iteratorINSA_10device_ptrIfEEEE22summary_stats_unary_opIfEEEPS6_S6_23summary_stats_binary_opIfEEE10hipError_tPvRmT1_T2_T3_mT4_P12ihipStream_tbEUlT_E0_NS1_11comp_targetILNS1_3genE9ELNS1_11target_archE1100ELNS1_3gpuE3ELNS1_3repE0EEENS1_30default_config_static_selectorELNS0_4arch9wavefront6targetE1EEEvSR_.num_agpr, 0
	.set _ZN7rocprim17ROCPRIM_400000_NS6detail17trampoline_kernelINS0_14default_configENS1_22reduce_config_selectorI18summary_stats_dataIfEEEZNS1_11reduce_implILb1ES3_N6thrust23THRUST_200600_302600_NS11hip_rocprim26transform_input_iterator_tIS6_NSA_6detail15normal_iteratorINSA_10device_ptrIfEEEE22summary_stats_unary_opIfEEEPS6_S6_23summary_stats_binary_opIfEEE10hipError_tPvRmT1_T2_T3_mT4_P12ihipStream_tbEUlT_E0_NS1_11comp_targetILNS1_3genE9ELNS1_11target_archE1100ELNS1_3gpuE3ELNS1_3repE0EEENS1_30default_config_static_selectorELNS0_4arch9wavefront6targetE1EEEvSR_.numbered_sgpr, 0
	.set _ZN7rocprim17ROCPRIM_400000_NS6detail17trampoline_kernelINS0_14default_configENS1_22reduce_config_selectorI18summary_stats_dataIfEEEZNS1_11reduce_implILb1ES3_N6thrust23THRUST_200600_302600_NS11hip_rocprim26transform_input_iterator_tIS6_NSA_6detail15normal_iteratorINSA_10device_ptrIfEEEE22summary_stats_unary_opIfEEEPS6_S6_23summary_stats_binary_opIfEEE10hipError_tPvRmT1_T2_T3_mT4_P12ihipStream_tbEUlT_E0_NS1_11comp_targetILNS1_3genE9ELNS1_11target_archE1100ELNS1_3gpuE3ELNS1_3repE0EEENS1_30default_config_static_selectorELNS0_4arch9wavefront6targetE1EEEvSR_.num_named_barrier, 0
	.set _ZN7rocprim17ROCPRIM_400000_NS6detail17trampoline_kernelINS0_14default_configENS1_22reduce_config_selectorI18summary_stats_dataIfEEEZNS1_11reduce_implILb1ES3_N6thrust23THRUST_200600_302600_NS11hip_rocprim26transform_input_iterator_tIS6_NSA_6detail15normal_iteratorINSA_10device_ptrIfEEEE22summary_stats_unary_opIfEEEPS6_S6_23summary_stats_binary_opIfEEE10hipError_tPvRmT1_T2_T3_mT4_P12ihipStream_tbEUlT_E0_NS1_11comp_targetILNS1_3genE9ELNS1_11target_archE1100ELNS1_3gpuE3ELNS1_3repE0EEENS1_30default_config_static_selectorELNS0_4arch9wavefront6targetE1EEEvSR_.private_seg_size, 0
	.set _ZN7rocprim17ROCPRIM_400000_NS6detail17trampoline_kernelINS0_14default_configENS1_22reduce_config_selectorI18summary_stats_dataIfEEEZNS1_11reduce_implILb1ES3_N6thrust23THRUST_200600_302600_NS11hip_rocprim26transform_input_iterator_tIS6_NSA_6detail15normal_iteratorINSA_10device_ptrIfEEEE22summary_stats_unary_opIfEEEPS6_S6_23summary_stats_binary_opIfEEE10hipError_tPvRmT1_T2_T3_mT4_P12ihipStream_tbEUlT_E0_NS1_11comp_targetILNS1_3genE9ELNS1_11target_archE1100ELNS1_3gpuE3ELNS1_3repE0EEENS1_30default_config_static_selectorELNS0_4arch9wavefront6targetE1EEEvSR_.uses_vcc, 0
	.set _ZN7rocprim17ROCPRIM_400000_NS6detail17trampoline_kernelINS0_14default_configENS1_22reduce_config_selectorI18summary_stats_dataIfEEEZNS1_11reduce_implILb1ES3_N6thrust23THRUST_200600_302600_NS11hip_rocprim26transform_input_iterator_tIS6_NSA_6detail15normal_iteratorINSA_10device_ptrIfEEEE22summary_stats_unary_opIfEEEPS6_S6_23summary_stats_binary_opIfEEE10hipError_tPvRmT1_T2_T3_mT4_P12ihipStream_tbEUlT_E0_NS1_11comp_targetILNS1_3genE9ELNS1_11target_archE1100ELNS1_3gpuE3ELNS1_3repE0EEENS1_30default_config_static_selectorELNS0_4arch9wavefront6targetE1EEEvSR_.uses_flat_scratch, 0
	.set _ZN7rocprim17ROCPRIM_400000_NS6detail17trampoline_kernelINS0_14default_configENS1_22reduce_config_selectorI18summary_stats_dataIfEEEZNS1_11reduce_implILb1ES3_N6thrust23THRUST_200600_302600_NS11hip_rocprim26transform_input_iterator_tIS6_NSA_6detail15normal_iteratorINSA_10device_ptrIfEEEE22summary_stats_unary_opIfEEEPS6_S6_23summary_stats_binary_opIfEEE10hipError_tPvRmT1_T2_T3_mT4_P12ihipStream_tbEUlT_E0_NS1_11comp_targetILNS1_3genE9ELNS1_11target_archE1100ELNS1_3gpuE3ELNS1_3repE0EEENS1_30default_config_static_selectorELNS0_4arch9wavefront6targetE1EEEvSR_.has_dyn_sized_stack, 0
	.set _ZN7rocprim17ROCPRIM_400000_NS6detail17trampoline_kernelINS0_14default_configENS1_22reduce_config_selectorI18summary_stats_dataIfEEEZNS1_11reduce_implILb1ES3_N6thrust23THRUST_200600_302600_NS11hip_rocprim26transform_input_iterator_tIS6_NSA_6detail15normal_iteratorINSA_10device_ptrIfEEEE22summary_stats_unary_opIfEEEPS6_S6_23summary_stats_binary_opIfEEE10hipError_tPvRmT1_T2_T3_mT4_P12ihipStream_tbEUlT_E0_NS1_11comp_targetILNS1_3genE9ELNS1_11target_archE1100ELNS1_3gpuE3ELNS1_3repE0EEENS1_30default_config_static_selectorELNS0_4arch9wavefront6targetE1EEEvSR_.has_recursion, 0
	.set _ZN7rocprim17ROCPRIM_400000_NS6detail17trampoline_kernelINS0_14default_configENS1_22reduce_config_selectorI18summary_stats_dataIfEEEZNS1_11reduce_implILb1ES3_N6thrust23THRUST_200600_302600_NS11hip_rocprim26transform_input_iterator_tIS6_NSA_6detail15normal_iteratorINSA_10device_ptrIfEEEE22summary_stats_unary_opIfEEEPS6_S6_23summary_stats_binary_opIfEEE10hipError_tPvRmT1_T2_T3_mT4_P12ihipStream_tbEUlT_E0_NS1_11comp_targetILNS1_3genE9ELNS1_11target_archE1100ELNS1_3gpuE3ELNS1_3repE0EEENS1_30default_config_static_selectorELNS0_4arch9wavefront6targetE1EEEvSR_.has_indirect_call, 0
	.section	.AMDGPU.csdata,"",@progbits
; Kernel info:
; codeLenInByte = 0
; TotalNumSgprs: 4
; NumVgprs: 0
; ScratchSize: 0
; MemoryBound: 0
; FloatMode: 240
; IeeeMode: 1
; LDSByteSize: 0 bytes/workgroup (compile time only)
; SGPRBlocks: 0
; VGPRBlocks: 0
; NumSGPRsForWavesPerEU: 4
; NumVGPRsForWavesPerEU: 1
; Occupancy: 10
; WaveLimiterHint : 0
; COMPUTE_PGM_RSRC2:SCRATCH_EN: 0
; COMPUTE_PGM_RSRC2:USER_SGPR: 6
; COMPUTE_PGM_RSRC2:TRAP_HANDLER: 0
; COMPUTE_PGM_RSRC2:TGID_X_EN: 1
; COMPUTE_PGM_RSRC2:TGID_Y_EN: 0
; COMPUTE_PGM_RSRC2:TGID_Z_EN: 0
; COMPUTE_PGM_RSRC2:TIDIG_COMP_CNT: 0
	.section	.text._ZN7rocprim17ROCPRIM_400000_NS6detail17trampoline_kernelINS0_14default_configENS1_22reduce_config_selectorI18summary_stats_dataIfEEEZNS1_11reduce_implILb1ES3_N6thrust23THRUST_200600_302600_NS11hip_rocprim26transform_input_iterator_tIS6_NSA_6detail15normal_iteratorINSA_10device_ptrIfEEEE22summary_stats_unary_opIfEEEPS6_S6_23summary_stats_binary_opIfEEE10hipError_tPvRmT1_T2_T3_mT4_P12ihipStream_tbEUlT_E0_NS1_11comp_targetILNS1_3genE8ELNS1_11target_archE1030ELNS1_3gpuE2ELNS1_3repE0EEENS1_30default_config_static_selectorELNS0_4arch9wavefront6targetE1EEEvSR_,"axG",@progbits,_ZN7rocprim17ROCPRIM_400000_NS6detail17trampoline_kernelINS0_14default_configENS1_22reduce_config_selectorI18summary_stats_dataIfEEEZNS1_11reduce_implILb1ES3_N6thrust23THRUST_200600_302600_NS11hip_rocprim26transform_input_iterator_tIS6_NSA_6detail15normal_iteratorINSA_10device_ptrIfEEEE22summary_stats_unary_opIfEEEPS6_S6_23summary_stats_binary_opIfEEE10hipError_tPvRmT1_T2_T3_mT4_P12ihipStream_tbEUlT_E0_NS1_11comp_targetILNS1_3genE8ELNS1_11target_archE1030ELNS1_3gpuE2ELNS1_3repE0EEENS1_30default_config_static_selectorELNS0_4arch9wavefront6targetE1EEEvSR_,comdat
	.protected	_ZN7rocprim17ROCPRIM_400000_NS6detail17trampoline_kernelINS0_14default_configENS1_22reduce_config_selectorI18summary_stats_dataIfEEEZNS1_11reduce_implILb1ES3_N6thrust23THRUST_200600_302600_NS11hip_rocprim26transform_input_iterator_tIS6_NSA_6detail15normal_iteratorINSA_10device_ptrIfEEEE22summary_stats_unary_opIfEEEPS6_S6_23summary_stats_binary_opIfEEE10hipError_tPvRmT1_T2_T3_mT4_P12ihipStream_tbEUlT_E0_NS1_11comp_targetILNS1_3genE8ELNS1_11target_archE1030ELNS1_3gpuE2ELNS1_3repE0EEENS1_30default_config_static_selectorELNS0_4arch9wavefront6targetE1EEEvSR_ ; -- Begin function _ZN7rocprim17ROCPRIM_400000_NS6detail17trampoline_kernelINS0_14default_configENS1_22reduce_config_selectorI18summary_stats_dataIfEEEZNS1_11reduce_implILb1ES3_N6thrust23THRUST_200600_302600_NS11hip_rocprim26transform_input_iterator_tIS6_NSA_6detail15normal_iteratorINSA_10device_ptrIfEEEE22summary_stats_unary_opIfEEEPS6_S6_23summary_stats_binary_opIfEEE10hipError_tPvRmT1_T2_T3_mT4_P12ihipStream_tbEUlT_E0_NS1_11comp_targetILNS1_3genE8ELNS1_11target_archE1030ELNS1_3gpuE2ELNS1_3repE0EEENS1_30default_config_static_selectorELNS0_4arch9wavefront6targetE1EEEvSR_
	.globl	_ZN7rocprim17ROCPRIM_400000_NS6detail17trampoline_kernelINS0_14default_configENS1_22reduce_config_selectorI18summary_stats_dataIfEEEZNS1_11reduce_implILb1ES3_N6thrust23THRUST_200600_302600_NS11hip_rocprim26transform_input_iterator_tIS6_NSA_6detail15normal_iteratorINSA_10device_ptrIfEEEE22summary_stats_unary_opIfEEEPS6_S6_23summary_stats_binary_opIfEEE10hipError_tPvRmT1_T2_T3_mT4_P12ihipStream_tbEUlT_E0_NS1_11comp_targetILNS1_3genE8ELNS1_11target_archE1030ELNS1_3gpuE2ELNS1_3repE0EEENS1_30default_config_static_selectorELNS0_4arch9wavefront6targetE1EEEvSR_
	.p2align	8
	.type	_ZN7rocprim17ROCPRIM_400000_NS6detail17trampoline_kernelINS0_14default_configENS1_22reduce_config_selectorI18summary_stats_dataIfEEEZNS1_11reduce_implILb1ES3_N6thrust23THRUST_200600_302600_NS11hip_rocprim26transform_input_iterator_tIS6_NSA_6detail15normal_iteratorINSA_10device_ptrIfEEEE22summary_stats_unary_opIfEEEPS6_S6_23summary_stats_binary_opIfEEE10hipError_tPvRmT1_T2_T3_mT4_P12ihipStream_tbEUlT_E0_NS1_11comp_targetILNS1_3genE8ELNS1_11target_archE1030ELNS1_3gpuE2ELNS1_3repE0EEENS1_30default_config_static_selectorELNS0_4arch9wavefront6targetE1EEEvSR_,@function
_ZN7rocprim17ROCPRIM_400000_NS6detail17trampoline_kernelINS0_14default_configENS1_22reduce_config_selectorI18summary_stats_dataIfEEEZNS1_11reduce_implILb1ES3_N6thrust23THRUST_200600_302600_NS11hip_rocprim26transform_input_iterator_tIS6_NSA_6detail15normal_iteratorINSA_10device_ptrIfEEEE22summary_stats_unary_opIfEEEPS6_S6_23summary_stats_binary_opIfEEE10hipError_tPvRmT1_T2_T3_mT4_P12ihipStream_tbEUlT_E0_NS1_11comp_targetILNS1_3genE8ELNS1_11target_archE1030ELNS1_3gpuE2ELNS1_3repE0EEENS1_30default_config_static_selectorELNS0_4arch9wavefront6targetE1EEEvSR_: ; @_ZN7rocprim17ROCPRIM_400000_NS6detail17trampoline_kernelINS0_14default_configENS1_22reduce_config_selectorI18summary_stats_dataIfEEEZNS1_11reduce_implILb1ES3_N6thrust23THRUST_200600_302600_NS11hip_rocprim26transform_input_iterator_tIS6_NSA_6detail15normal_iteratorINSA_10device_ptrIfEEEE22summary_stats_unary_opIfEEEPS6_S6_23summary_stats_binary_opIfEEE10hipError_tPvRmT1_T2_T3_mT4_P12ihipStream_tbEUlT_E0_NS1_11comp_targetILNS1_3genE8ELNS1_11target_archE1030ELNS1_3gpuE2ELNS1_3repE0EEENS1_30default_config_static_selectorELNS0_4arch9wavefront6targetE1EEEvSR_
; %bb.0:
	.section	.rodata,"a",@progbits
	.p2align	6, 0x0
	.amdhsa_kernel _ZN7rocprim17ROCPRIM_400000_NS6detail17trampoline_kernelINS0_14default_configENS1_22reduce_config_selectorI18summary_stats_dataIfEEEZNS1_11reduce_implILb1ES3_N6thrust23THRUST_200600_302600_NS11hip_rocprim26transform_input_iterator_tIS6_NSA_6detail15normal_iteratorINSA_10device_ptrIfEEEE22summary_stats_unary_opIfEEEPS6_S6_23summary_stats_binary_opIfEEE10hipError_tPvRmT1_T2_T3_mT4_P12ihipStream_tbEUlT_E0_NS1_11comp_targetILNS1_3genE8ELNS1_11target_archE1030ELNS1_3gpuE2ELNS1_3repE0EEENS1_30default_config_static_selectorELNS0_4arch9wavefront6targetE1EEEvSR_
		.amdhsa_group_segment_fixed_size 0
		.amdhsa_private_segment_fixed_size 0
		.amdhsa_kernarg_size 88
		.amdhsa_user_sgpr_count 6
		.amdhsa_user_sgpr_private_segment_buffer 1
		.amdhsa_user_sgpr_dispatch_ptr 0
		.amdhsa_user_sgpr_queue_ptr 0
		.amdhsa_user_sgpr_kernarg_segment_ptr 1
		.amdhsa_user_sgpr_dispatch_id 0
		.amdhsa_user_sgpr_flat_scratch_init 0
		.amdhsa_user_sgpr_private_segment_size 0
		.amdhsa_uses_dynamic_stack 0
		.amdhsa_system_sgpr_private_segment_wavefront_offset 0
		.amdhsa_system_sgpr_workgroup_id_x 1
		.amdhsa_system_sgpr_workgroup_id_y 0
		.amdhsa_system_sgpr_workgroup_id_z 0
		.amdhsa_system_sgpr_workgroup_info 0
		.amdhsa_system_vgpr_workitem_id 0
		.amdhsa_next_free_vgpr 1
		.amdhsa_next_free_sgpr 0
		.amdhsa_reserve_vcc 0
		.amdhsa_reserve_flat_scratch 0
		.amdhsa_float_round_mode_32 0
		.amdhsa_float_round_mode_16_64 0
		.amdhsa_float_denorm_mode_32 3
		.amdhsa_float_denorm_mode_16_64 3
		.amdhsa_dx10_clamp 1
		.amdhsa_ieee_mode 1
		.amdhsa_fp16_overflow 0
		.amdhsa_exception_fp_ieee_invalid_op 0
		.amdhsa_exception_fp_denorm_src 0
		.amdhsa_exception_fp_ieee_div_zero 0
		.amdhsa_exception_fp_ieee_overflow 0
		.amdhsa_exception_fp_ieee_underflow 0
		.amdhsa_exception_fp_ieee_inexact 0
		.amdhsa_exception_int_div_zero 0
	.end_amdhsa_kernel
	.section	.text._ZN7rocprim17ROCPRIM_400000_NS6detail17trampoline_kernelINS0_14default_configENS1_22reduce_config_selectorI18summary_stats_dataIfEEEZNS1_11reduce_implILb1ES3_N6thrust23THRUST_200600_302600_NS11hip_rocprim26transform_input_iterator_tIS6_NSA_6detail15normal_iteratorINSA_10device_ptrIfEEEE22summary_stats_unary_opIfEEEPS6_S6_23summary_stats_binary_opIfEEE10hipError_tPvRmT1_T2_T3_mT4_P12ihipStream_tbEUlT_E0_NS1_11comp_targetILNS1_3genE8ELNS1_11target_archE1030ELNS1_3gpuE2ELNS1_3repE0EEENS1_30default_config_static_selectorELNS0_4arch9wavefront6targetE1EEEvSR_,"axG",@progbits,_ZN7rocprim17ROCPRIM_400000_NS6detail17trampoline_kernelINS0_14default_configENS1_22reduce_config_selectorI18summary_stats_dataIfEEEZNS1_11reduce_implILb1ES3_N6thrust23THRUST_200600_302600_NS11hip_rocprim26transform_input_iterator_tIS6_NSA_6detail15normal_iteratorINSA_10device_ptrIfEEEE22summary_stats_unary_opIfEEEPS6_S6_23summary_stats_binary_opIfEEE10hipError_tPvRmT1_T2_T3_mT4_P12ihipStream_tbEUlT_E0_NS1_11comp_targetILNS1_3genE8ELNS1_11target_archE1030ELNS1_3gpuE2ELNS1_3repE0EEENS1_30default_config_static_selectorELNS0_4arch9wavefront6targetE1EEEvSR_,comdat
.Lfunc_end26:
	.size	_ZN7rocprim17ROCPRIM_400000_NS6detail17trampoline_kernelINS0_14default_configENS1_22reduce_config_selectorI18summary_stats_dataIfEEEZNS1_11reduce_implILb1ES3_N6thrust23THRUST_200600_302600_NS11hip_rocprim26transform_input_iterator_tIS6_NSA_6detail15normal_iteratorINSA_10device_ptrIfEEEE22summary_stats_unary_opIfEEEPS6_S6_23summary_stats_binary_opIfEEE10hipError_tPvRmT1_T2_T3_mT4_P12ihipStream_tbEUlT_E0_NS1_11comp_targetILNS1_3genE8ELNS1_11target_archE1030ELNS1_3gpuE2ELNS1_3repE0EEENS1_30default_config_static_selectorELNS0_4arch9wavefront6targetE1EEEvSR_, .Lfunc_end26-_ZN7rocprim17ROCPRIM_400000_NS6detail17trampoline_kernelINS0_14default_configENS1_22reduce_config_selectorI18summary_stats_dataIfEEEZNS1_11reduce_implILb1ES3_N6thrust23THRUST_200600_302600_NS11hip_rocprim26transform_input_iterator_tIS6_NSA_6detail15normal_iteratorINSA_10device_ptrIfEEEE22summary_stats_unary_opIfEEEPS6_S6_23summary_stats_binary_opIfEEE10hipError_tPvRmT1_T2_T3_mT4_P12ihipStream_tbEUlT_E0_NS1_11comp_targetILNS1_3genE8ELNS1_11target_archE1030ELNS1_3gpuE2ELNS1_3repE0EEENS1_30default_config_static_selectorELNS0_4arch9wavefront6targetE1EEEvSR_
                                        ; -- End function
	.set _ZN7rocprim17ROCPRIM_400000_NS6detail17trampoline_kernelINS0_14default_configENS1_22reduce_config_selectorI18summary_stats_dataIfEEEZNS1_11reduce_implILb1ES3_N6thrust23THRUST_200600_302600_NS11hip_rocprim26transform_input_iterator_tIS6_NSA_6detail15normal_iteratorINSA_10device_ptrIfEEEE22summary_stats_unary_opIfEEEPS6_S6_23summary_stats_binary_opIfEEE10hipError_tPvRmT1_T2_T3_mT4_P12ihipStream_tbEUlT_E0_NS1_11comp_targetILNS1_3genE8ELNS1_11target_archE1030ELNS1_3gpuE2ELNS1_3repE0EEENS1_30default_config_static_selectorELNS0_4arch9wavefront6targetE1EEEvSR_.num_vgpr, 0
	.set _ZN7rocprim17ROCPRIM_400000_NS6detail17trampoline_kernelINS0_14default_configENS1_22reduce_config_selectorI18summary_stats_dataIfEEEZNS1_11reduce_implILb1ES3_N6thrust23THRUST_200600_302600_NS11hip_rocprim26transform_input_iterator_tIS6_NSA_6detail15normal_iteratorINSA_10device_ptrIfEEEE22summary_stats_unary_opIfEEEPS6_S6_23summary_stats_binary_opIfEEE10hipError_tPvRmT1_T2_T3_mT4_P12ihipStream_tbEUlT_E0_NS1_11comp_targetILNS1_3genE8ELNS1_11target_archE1030ELNS1_3gpuE2ELNS1_3repE0EEENS1_30default_config_static_selectorELNS0_4arch9wavefront6targetE1EEEvSR_.num_agpr, 0
	.set _ZN7rocprim17ROCPRIM_400000_NS6detail17trampoline_kernelINS0_14default_configENS1_22reduce_config_selectorI18summary_stats_dataIfEEEZNS1_11reduce_implILb1ES3_N6thrust23THRUST_200600_302600_NS11hip_rocprim26transform_input_iterator_tIS6_NSA_6detail15normal_iteratorINSA_10device_ptrIfEEEE22summary_stats_unary_opIfEEEPS6_S6_23summary_stats_binary_opIfEEE10hipError_tPvRmT1_T2_T3_mT4_P12ihipStream_tbEUlT_E0_NS1_11comp_targetILNS1_3genE8ELNS1_11target_archE1030ELNS1_3gpuE2ELNS1_3repE0EEENS1_30default_config_static_selectorELNS0_4arch9wavefront6targetE1EEEvSR_.numbered_sgpr, 0
	.set _ZN7rocprim17ROCPRIM_400000_NS6detail17trampoline_kernelINS0_14default_configENS1_22reduce_config_selectorI18summary_stats_dataIfEEEZNS1_11reduce_implILb1ES3_N6thrust23THRUST_200600_302600_NS11hip_rocprim26transform_input_iterator_tIS6_NSA_6detail15normal_iteratorINSA_10device_ptrIfEEEE22summary_stats_unary_opIfEEEPS6_S6_23summary_stats_binary_opIfEEE10hipError_tPvRmT1_T2_T3_mT4_P12ihipStream_tbEUlT_E0_NS1_11comp_targetILNS1_3genE8ELNS1_11target_archE1030ELNS1_3gpuE2ELNS1_3repE0EEENS1_30default_config_static_selectorELNS0_4arch9wavefront6targetE1EEEvSR_.num_named_barrier, 0
	.set _ZN7rocprim17ROCPRIM_400000_NS6detail17trampoline_kernelINS0_14default_configENS1_22reduce_config_selectorI18summary_stats_dataIfEEEZNS1_11reduce_implILb1ES3_N6thrust23THRUST_200600_302600_NS11hip_rocprim26transform_input_iterator_tIS6_NSA_6detail15normal_iteratorINSA_10device_ptrIfEEEE22summary_stats_unary_opIfEEEPS6_S6_23summary_stats_binary_opIfEEE10hipError_tPvRmT1_T2_T3_mT4_P12ihipStream_tbEUlT_E0_NS1_11comp_targetILNS1_3genE8ELNS1_11target_archE1030ELNS1_3gpuE2ELNS1_3repE0EEENS1_30default_config_static_selectorELNS0_4arch9wavefront6targetE1EEEvSR_.private_seg_size, 0
	.set _ZN7rocprim17ROCPRIM_400000_NS6detail17trampoline_kernelINS0_14default_configENS1_22reduce_config_selectorI18summary_stats_dataIfEEEZNS1_11reduce_implILb1ES3_N6thrust23THRUST_200600_302600_NS11hip_rocprim26transform_input_iterator_tIS6_NSA_6detail15normal_iteratorINSA_10device_ptrIfEEEE22summary_stats_unary_opIfEEEPS6_S6_23summary_stats_binary_opIfEEE10hipError_tPvRmT1_T2_T3_mT4_P12ihipStream_tbEUlT_E0_NS1_11comp_targetILNS1_3genE8ELNS1_11target_archE1030ELNS1_3gpuE2ELNS1_3repE0EEENS1_30default_config_static_selectorELNS0_4arch9wavefront6targetE1EEEvSR_.uses_vcc, 0
	.set _ZN7rocprim17ROCPRIM_400000_NS6detail17trampoline_kernelINS0_14default_configENS1_22reduce_config_selectorI18summary_stats_dataIfEEEZNS1_11reduce_implILb1ES3_N6thrust23THRUST_200600_302600_NS11hip_rocprim26transform_input_iterator_tIS6_NSA_6detail15normal_iteratorINSA_10device_ptrIfEEEE22summary_stats_unary_opIfEEEPS6_S6_23summary_stats_binary_opIfEEE10hipError_tPvRmT1_T2_T3_mT4_P12ihipStream_tbEUlT_E0_NS1_11comp_targetILNS1_3genE8ELNS1_11target_archE1030ELNS1_3gpuE2ELNS1_3repE0EEENS1_30default_config_static_selectorELNS0_4arch9wavefront6targetE1EEEvSR_.uses_flat_scratch, 0
	.set _ZN7rocprim17ROCPRIM_400000_NS6detail17trampoline_kernelINS0_14default_configENS1_22reduce_config_selectorI18summary_stats_dataIfEEEZNS1_11reduce_implILb1ES3_N6thrust23THRUST_200600_302600_NS11hip_rocprim26transform_input_iterator_tIS6_NSA_6detail15normal_iteratorINSA_10device_ptrIfEEEE22summary_stats_unary_opIfEEEPS6_S6_23summary_stats_binary_opIfEEE10hipError_tPvRmT1_T2_T3_mT4_P12ihipStream_tbEUlT_E0_NS1_11comp_targetILNS1_3genE8ELNS1_11target_archE1030ELNS1_3gpuE2ELNS1_3repE0EEENS1_30default_config_static_selectorELNS0_4arch9wavefront6targetE1EEEvSR_.has_dyn_sized_stack, 0
	.set _ZN7rocprim17ROCPRIM_400000_NS6detail17trampoline_kernelINS0_14default_configENS1_22reduce_config_selectorI18summary_stats_dataIfEEEZNS1_11reduce_implILb1ES3_N6thrust23THRUST_200600_302600_NS11hip_rocprim26transform_input_iterator_tIS6_NSA_6detail15normal_iteratorINSA_10device_ptrIfEEEE22summary_stats_unary_opIfEEEPS6_S6_23summary_stats_binary_opIfEEE10hipError_tPvRmT1_T2_T3_mT4_P12ihipStream_tbEUlT_E0_NS1_11comp_targetILNS1_3genE8ELNS1_11target_archE1030ELNS1_3gpuE2ELNS1_3repE0EEENS1_30default_config_static_selectorELNS0_4arch9wavefront6targetE1EEEvSR_.has_recursion, 0
	.set _ZN7rocprim17ROCPRIM_400000_NS6detail17trampoline_kernelINS0_14default_configENS1_22reduce_config_selectorI18summary_stats_dataIfEEEZNS1_11reduce_implILb1ES3_N6thrust23THRUST_200600_302600_NS11hip_rocprim26transform_input_iterator_tIS6_NSA_6detail15normal_iteratorINSA_10device_ptrIfEEEE22summary_stats_unary_opIfEEEPS6_S6_23summary_stats_binary_opIfEEE10hipError_tPvRmT1_T2_T3_mT4_P12ihipStream_tbEUlT_E0_NS1_11comp_targetILNS1_3genE8ELNS1_11target_archE1030ELNS1_3gpuE2ELNS1_3repE0EEENS1_30default_config_static_selectorELNS0_4arch9wavefront6targetE1EEEvSR_.has_indirect_call, 0
	.section	.AMDGPU.csdata,"",@progbits
; Kernel info:
; codeLenInByte = 0
; TotalNumSgprs: 4
; NumVgprs: 0
; ScratchSize: 0
; MemoryBound: 0
; FloatMode: 240
; IeeeMode: 1
; LDSByteSize: 0 bytes/workgroup (compile time only)
; SGPRBlocks: 0
; VGPRBlocks: 0
; NumSGPRsForWavesPerEU: 4
; NumVGPRsForWavesPerEU: 1
; Occupancy: 10
; WaveLimiterHint : 0
; COMPUTE_PGM_RSRC2:SCRATCH_EN: 0
; COMPUTE_PGM_RSRC2:USER_SGPR: 6
; COMPUTE_PGM_RSRC2:TRAP_HANDLER: 0
; COMPUTE_PGM_RSRC2:TGID_X_EN: 1
; COMPUTE_PGM_RSRC2:TGID_Y_EN: 0
; COMPUTE_PGM_RSRC2:TGID_Z_EN: 0
; COMPUTE_PGM_RSRC2:TIDIG_COMP_CNT: 0
	.section	.text._ZN7rocprim17ROCPRIM_400000_NS6detail17trampoline_kernelINS0_14default_configENS1_22reduce_config_selectorI18summary_stats_dataIfEEEZNS1_11reduce_implILb1ES3_N6thrust23THRUST_200600_302600_NS11hip_rocprim26transform_input_iterator_tIS6_NSA_6detail15normal_iteratorINSA_10device_ptrIfEEEE22summary_stats_unary_opIfEEEPS6_S6_23summary_stats_binary_opIfEEE10hipError_tPvRmT1_T2_T3_mT4_P12ihipStream_tbEUlT_E1_NS1_11comp_targetILNS1_3genE0ELNS1_11target_archE4294967295ELNS1_3gpuE0ELNS1_3repE0EEENS1_30default_config_static_selectorELNS0_4arch9wavefront6targetE1EEEvSR_,"axG",@progbits,_ZN7rocprim17ROCPRIM_400000_NS6detail17trampoline_kernelINS0_14default_configENS1_22reduce_config_selectorI18summary_stats_dataIfEEEZNS1_11reduce_implILb1ES3_N6thrust23THRUST_200600_302600_NS11hip_rocprim26transform_input_iterator_tIS6_NSA_6detail15normal_iteratorINSA_10device_ptrIfEEEE22summary_stats_unary_opIfEEEPS6_S6_23summary_stats_binary_opIfEEE10hipError_tPvRmT1_T2_T3_mT4_P12ihipStream_tbEUlT_E1_NS1_11comp_targetILNS1_3genE0ELNS1_11target_archE4294967295ELNS1_3gpuE0ELNS1_3repE0EEENS1_30default_config_static_selectorELNS0_4arch9wavefront6targetE1EEEvSR_,comdat
	.protected	_ZN7rocprim17ROCPRIM_400000_NS6detail17trampoline_kernelINS0_14default_configENS1_22reduce_config_selectorI18summary_stats_dataIfEEEZNS1_11reduce_implILb1ES3_N6thrust23THRUST_200600_302600_NS11hip_rocprim26transform_input_iterator_tIS6_NSA_6detail15normal_iteratorINSA_10device_ptrIfEEEE22summary_stats_unary_opIfEEEPS6_S6_23summary_stats_binary_opIfEEE10hipError_tPvRmT1_T2_T3_mT4_P12ihipStream_tbEUlT_E1_NS1_11comp_targetILNS1_3genE0ELNS1_11target_archE4294967295ELNS1_3gpuE0ELNS1_3repE0EEENS1_30default_config_static_selectorELNS0_4arch9wavefront6targetE1EEEvSR_ ; -- Begin function _ZN7rocprim17ROCPRIM_400000_NS6detail17trampoline_kernelINS0_14default_configENS1_22reduce_config_selectorI18summary_stats_dataIfEEEZNS1_11reduce_implILb1ES3_N6thrust23THRUST_200600_302600_NS11hip_rocprim26transform_input_iterator_tIS6_NSA_6detail15normal_iteratorINSA_10device_ptrIfEEEE22summary_stats_unary_opIfEEEPS6_S6_23summary_stats_binary_opIfEEE10hipError_tPvRmT1_T2_T3_mT4_P12ihipStream_tbEUlT_E1_NS1_11comp_targetILNS1_3genE0ELNS1_11target_archE4294967295ELNS1_3gpuE0ELNS1_3repE0EEENS1_30default_config_static_selectorELNS0_4arch9wavefront6targetE1EEEvSR_
	.globl	_ZN7rocprim17ROCPRIM_400000_NS6detail17trampoline_kernelINS0_14default_configENS1_22reduce_config_selectorI18summary_stats_dataIfEEEZNS1_11reduce_implILb1ES3_N6thrust23THRUST_200600_302600_NS11hip_rocprim26transform_input_iterator_tIS6_NSA_6detail15normal_iteratorINSA_10device_ptrIfEEEE22summary_stats_unary_opIfEEEPS6_S6_23summary_stats_binary_opIfEEE10hipError_tPvRmT1_T2_T3_mT4_P12ihipStream_tbEUlT_E1_NS1_11comp_targetILNS1_3genE0ELNS1_11target_archE4294967295ELNS1_3gpuE0ELNS1_3repE0EEENS1_30default_config_static_selectorELNS0_4arch9wavefront6targetE1EEEvSR_
	.p2align	8
	.type	_ZN7rocprim17ROCPRIM_400000_NS6detail17trampoline_kernelINS0_14default_configENS1_22reduce_config_selectorI18summary_stats_dataIfEEEZNS1_11reduce_implILb1ES3_N6thrust23THRUST_200600_302600_NS11hip_rocprim26transform_input_iterator_tIS6_NSA_6detail15normal_iteratorINSA_10device_ptrIfEEEE22summary_stats_unary_opIfEEEPS6_S6_23summary_stats_binary_opIfEEE10hipError_tPvRmT1_T2_T3_mT4_P12ihipStream_tbEUlT_E1_NS1_11comp_targetILNS1_3genE0ELNS1_11target_archE4294967295ELNS1_3gpuE0ELNS1_3repE0EEENS1_30default_config_static_selectorELNS0_4arch9wavefront6targetE1EEEvSR_,@function
_ZN7rocprim17ROCPRIM_400000_NS6detail17trampoline_kernelINS0_14default_configENS1_22reduce_config_selectorI18summary_stats_dataIfEEEZNS1_11reduce_implILb1ES3_N6thrust23THRUST_200600_302600_NS11hip_rocprim26transform_input_iterator_tIS6_NSA_6detail15normal_iteratorINSA_10device_ptrIfEEEE22summary_stats_unary_opIfEEEPS6_S6_23summary_stats_binary_opIfEEE10hipError_tPvRmT1_T2_T3_mT4_P12ihipStream_tbEUlT_E1_NS1_11comp_targetILNS1_3genE0ELNS1_11target_archE4294967295ELNS1_3gpuE0ELNS1_3repE0EEENS1_30default_config_static_selectorELNS0_4arch9wavefront6targetE1EEEvSR_: ; @_ZN7rocprim17ROCPRIM_400000_NS6detail17trampoline_kernelINS0_14default_configENS1_22reduce_config_selectorI18summary_stats_dataIfEEEZNS1_11reduce_implILb1ES3_N6thrust23THRUST_200600_302600_NS11hip_rocprim26transform_input_iterator_tIS6_NSA_6detail15normal_iteratorINSA_10device_ptrIfEEEE22summary_stats_unary_opIfEEEPS6_S6_23summary_stats_binary_opIfEEE10hipError_tPvRmT1_T2_T3_mT4_P12ihipStream_tbEUlT_E1_NS1_11comp_targetILNS1_3genE0ELNS1_11target_archE4294967295ELNS1_3gpuE0ELNS1_3repE0EEENS1_30default_config_static_selectorELNS0_4arch9wavefront6targetE1EEEvSR_
; %bb.0:
	.section	.rodata,"a",@progbits
	.p2align	6, 0x0
	.amdhsa_kernel _ZN7rocprim17ROCPRIM_400000_NS6detail17trampoline_kernelINS0_14default_configENS1_22reduce_config_selectorI18summary_stats_dataIfEEEZNS1_11reduce_implILb1ES3_N6thrust23THRUST_200600_302600_NS11hip_rocprim26transform_input_iterator_tIS6_NSA_6detail15normal_iteratorINSA_10device_ptrIfEEEE22summary_stats_unary_opIfEEEPS6_S6_23summary_stats_binary_opIfEEE10hipError_tPvRmT1_T2_T3_mT4_P12ihipStream_tbEUlT_E1_NS1_11comp_targetILNS1_3genE0ELNS1_11target_archE4294967295ELNS1_3gpuE0ELNS1_3repE0EEENS1_30default_config_static_selectorELNS0_4arch9wavefront6targetE1EEEvSR_
		.amdhsa_group_segment_fixed_size 0
		.amdhsa_private_segment_fixed_size 0
		.amdhsa_kernarg_size 72
		.amdhsa_user_sgpr_count 6
		.amdhsa_user_sgpr_private_segment_buffer 1
		.amdhsa_user_sgpr_dispatch_ptr 0
		.amdhsa_user_sgpr_queue_ptr 0
		.amdhsa_user_sgpr_kernarg_segment_ptr 1
		.amdhsa_user_sgpr_dispatch_id 0
		.amdhsa_user_sgpr_flat_scratch_init 0
		.amdhsa_user_sgpr_private_segment_size 0
		.amdhsa_uses_dynamic_stack 0
		.amdhsa_system_sgpr_private_segment_wavefront_offset 0
		.amdhsa_system_sgpr_workgroup_id_x 1
		.amdhsa_system_sgpr_workgroup_id_y 0
		.amdhsa_system_sgpr_workgroup_id_z 0
		.amdhsa_system_sgpr_workgroup_info 0
		.amdhsa_system_vgpr_workitem_id 0
		.amdhsa_next_free_vgpr 1
		.amdhsa_next_free_sgpr 0
		.amdhsa_reserve_vcc 0
		.amdhsa_reserve_flat_scratch 0
		.amdhsa_float_round_mode_32 0
		.amdhsa_float_round_mode_16_64 0
		.amdhsa_float_denorm_mode_32 3
		.amdhsa_float_denorm_mode_16_64 3
		.amdhsa_dx10_clamp 1
		.amdhsa_ieee_mode 1
		.amdhsa_fp16_overflow 0
		.amdhsa_exception_fp_ieee_invalid_op 0
		.amdhsa_exception_fp_denorm_src 0
		.amdhsa_exception_fp_ieee_div_zero 0
		.amdhsa_exception_fp_ieee_overflow 0
		.amdhsa_exception_fp_ieee_underflow 0
		.amdhsa_exception_fp_ieee_inexact 0
		.amdhsa_exception_int_div_zero 0
	.end_amdhsa_kernel
	.section	.text._ZN7rocprim17ROCPRIM_400000_NS6detail17trampoline_kernelINS0_14default_configENS1_22reduce_config_selectorI18summary_stats_dataIfEEEZNS1_11reduce_implILb1ES3_N6thrust23THRUST_200600_302600_NS11hip_rocprim26transform_input_iterator_tIS6_NSA_6detail15normal_iteratorINSA_10device_ptrIfEEEE22summary_stats_unary_opIfEEEPS6_S6_23summary_stats_binary_opIfEEE10hipError_tPvRmT1_T2_T3_mT4_P12ihipStream_tbEUlT_E1_NS1_11comp_targetILNS1_3genE0ELNS1_11target_archE4294967295ELNS1_3gpuE0ELNS1_3repE0EEENS1_30default_config_static_selectorELNS0_4arch9wavefront6targetE1EEEvSR_,"axG",@progbits,_ZN7rocprim17ROCPRIM_400000_NS6detail17trampoline_kernelINS0_14default_configENS1_22reduce_config_selectorI18summary_stats_dataIfEEEZNS1_11reduce_implILb1ES3_N6thrust23THRUST_200600_302600_NS11hip_rocprim26transform_input_iterator_tIS6_NSA_6detail15normal_iteratorINSA_10device_ptrIfEEEE22summary_stats_unary_opIfEEEPS6_S6_23summary_stats_binary_opIfEEE10hipError_tPvRmT1_T2_T3_mT4_P12ihipStream_tbEUlT_E1_NS1_11comp_targetILNS1_3genE0ELNS1_11target_archE4294967295ELNS1_3gpuE0ELNS1_3repE0EEENS1_30default_config_static_selectorELNS0_4arch9wavefront6targetE1EEEvSR_,comdat
.Lfunc_end27:
	.size	_ZN7rocprim17ROCPRIM_400000_NS6detail17trampoline_kernelINS0_14default_configENS1_22reduce_config_selectorI18summary_stats_dataIfEEEZNS1_11reduce_implILb1ES3_N6thrust23THRUST_200600_302600_NS11hip_rocprim26transform_input_iterator_tIS6_NSA_6detail15normal_iteratorINSA_10device_ptrIfEEEE22summary_stats_unary_opIfEEEPS6_S6_23summary_stats_binary_opIfEEE10hipError_tPvRmT1_T2_T3_mT4_P12ihipStream_tbEUlT_E1_NS1_11comp_targetILNS1_3genE0ELNS1_11target_archE4294967295ELNS1_3gpuE0ELNS1_3repE0EEENS1_30default_config_static_selectorELNS0_4arch9wavefront6targetE1EEEvSR_, .Lfunc_end27-_ZN7rocprim17ROCPRIM_400000_NS6detail17trampoline_kernelINS0_14default_configENS1_22reduce_config_selectorI18summary_stats_dataIfEEEZNS1_11reduce_implILb1ES3_N6thrust23THRUST_200600_302600_NS11hip_rocprim26transform_input_iterator_tIS6_NSA_6detail15normal_iteratorINSA_10device_ptrIfEEEE22summary_stats_unary_opIfEEEPS6_S6_23summary_stats_binary_opIfEEE10hipError_tPvRmT1_T2_T3_mT4_P12ihipStream_tbEUlT_E1_NS1_11comp_targetILNS1_3genE0ELNS1_11target_archE4294967295ELNS1_3gpuE0ELNS1_3repE0EEENS1_30default_config_static_selectorELNS0_4arch9wavefront6targetE1EEEvSR_
                                        ; -- End function
	.set _ZN7rocprim17ROCPRIM_400000_NS6detail17trampoline_kernelINS0_14default_configENS1_22reduce_config_selectorI18summary_stats_dataIfEEEZNS1_11reduce_implILb1ES3_N6thrust23THRUST_200600_302600_NS11hip_rocprim26transform_input_iterator_tIS6_NSA_6detail15normal_iteratorINSA_10device_ptrIfEEEE22summary_stats_unary_opIfEEEPS6_S6_23summary_stats_binary_opIfEEE10hipError_tPvRmT1_T2_T3_mT4_P12ihipStream_tbEUlT_E1_NS1_11comp_targetILNS1_3genE0ELNS1_11target_archE4294967295ELNS1_3gpuE0ELNS1_3repE0EEENS1_30default_config_static_selectorELNS0_4arch9wavefront6targetE1EEEvSR_.num_vgpr, 0
	.set _ZN7rocprim17ROCPRIM_400000_NS6detail17trampoline_kernelINS0_14default_configENS1_22reduce_config_selectorI18summary_stats_dataIfEEEZNS1_11reduce_implILb1ES3_N6thrust23THRUST_200600_302600_NS11hip_rocprim26transform_input_iterator_tIS6_NSA_6detail15normal_iteratorINSA_10device_ptrIfEEEE22summary_stats_unary_opIfEEEPS6_S6_23summary_stats_binary_opIfEEE10hipError_tPvRmT1_T2_T3_mT4_P12ihipStream_tbEUlT_E1_NS1_11comp_targetILNS1_3genE0ELNS1_11target_archE4294967295ELNS1_3gpuE0ELNS1_3repE0EEENS1_30default_config_static_selectorELNS0_4arch9wavefront6targetE1EEEvSR_.num_agpr, 0
	.set _ZN7rocprim17ROCPRIM_400000_NS6detail17trampoline_kernelINS0_14default_configENS1_22reduce_config_selectorI18summary_stats_dataIfEEEZNS1_11reduce_implILb1ES3_N6thrust23THRUST_200600_302600_NS11hip_rocprim26transform_input_iterator_tIS6_NSA_6detail15normal_iteratorINSA_10device_ptrIfEEEE22summary_stats_unary_opIfEEEPS6_S6_23summary_stats_binary_opIfEEE10hipError_tPvRmT1_T2_T3_mT4_P12ihipStream_tbEUlT_E1_NS1_11comp_targetILNS1_3genE0ELNS1_11target_archE4294967295ELNS1_3gpuE0ELNS1_3repE0EEENS1_30default_config_static_selectorELNS0_4arch9wavefront6targetE1EEEvSR_.numbered_sgpr, 0
	.set _ZN7rocprim17ROCPRIM_400000_NS6detail17trampoline_kernelINS0_14default_configENS1_22reduce_config_selectorI18summary_stats_dataIfEEEZNS1_11reduce_implILb1ES3_N6thrust23THRUST_200600_302600_NS11hip_rocprim26transform_input_iterator_tIS6_NSA_6detail15normal_iteratorINSA_10device_ptrIfEEEE22summary_stats_unary_opIfEEEPS6_S6_23summary_stats_binary_opIfEEE10hipError_tPvRmT1_T2_T3_mT4_P12ihipStream_tbEUlT_E1_NS1_11comp_targetILNS1_3genE0ELNS1_11target_archE4294967295ELNS1_3gpuE0ELNS1_3repE0EEENS1_30default_config_static_selectorELNS0_4arch9wavefront6targetE1EEEvSR_.num_named_barrier, 0
	.set _ZN7rocprim17ROCPRIM_400000_NS6detail17trampoline_kernelINS0_14default_configENS1_22reduce_config_selectorI18summary_stats_dataIfEEEZNS1_11reduce_implILb1ES3_N6thrust23THRUST_200600_302600_NS11hip_rocprim26transform_input_iterator_tIS6_NSA_6detail15normal_iteratorINSA_10device_ptrIfEEEE22summary_stats_unary_opIfEEEPS6_S6_23summary_stats_binary_opIfEEE10hipError_tPvRmT1_T2_T3_mT4_P12ihipStream_tbEUlT_E1_NS1_11comp_targetILNS1_3genE0ELNS1_11target_archE4294967295ELNS1_3gpuE0ELNS1_3repE0EEENS1_30default_config_static_selectorELNS0_4arch9wavefront6targetE1EEEvSR_.private_seg_size, 0
	.set _ZN7rocprim17ROCPRIM_400000_NS6detail17trampoline_kernelINS0_14default_configENS1_22reduce_config_selectorI18summary_stats_dataIfEEEZNS1_11reduce_implILb1ES3_N6thrust23THRUST_200600_302600_NS11hip_rocprim26transform_input_iterator_tIS6_NSA_6detail15normal_iteratorINSA_10device_ptrIfEEEE22summary_stats_unary_opIfEEEPS6_S6_23summary_stats_binary_opIfEEE10hipError_tPvRmT1_T2_T3_mT4_P12ihipStream_tbEUlT_E1_NS1_11comp_targetILNS1_3genE0ELNS1_11target_archE4294967295ELNS1_3gpuE0ELNS1_3repE0EEENS1_30default_config_static_selectorELNS0_4arch9wavefront6targetE1EEEvSR_.uses_vcc, 0
	.set _ZN7rocprim17ROCPRIM_400000_NS6detail17trampoline_kernelINS0_14default_configENS1_22reduce_config_selectorI18summary_stats_dataIfEEEZNS1_11reduce_implILb1ES3_N6thrust23THRUST_200600_302600_NS11hip_rocprim26transform_input_iterator_tIS6_NSA_6detail15normal_iteratorINSA_10device_ptrIfEEEE22summary_stats_unary_opIfEEEPS6_S6_23summary_stats_binary_opIfEEE10hipError_tPvRmT1_T2_T3_mT4_P12ihipStream_tbEUlT_E1_NS1_11comp_targetILNS1_3genE0ELNS1_11target_archE4294967295ELNS1_3gpuE0ELNS1_3repE0EEENS1_30default_config_static_selectorELNS0_4arch9wavefront6targetE1EEEvSR_.uses_flat_scratch, 0
	.set _ZN7rocprim17ROCPRIM_400000_NS6detail17trampoline_kernelINS0_14default_configENS1_22reduce_config_selectorI18summary_stats_dataIfEEEZNS1_11reduce_implILb1ES3_N6thrust23THRUST_200600_302600_NS11hip_rocprim26transform_input_iterator_tIS6_NSA_6detail15normal_iteratorINSA_10device_ptrIfEEEE22summary_stats_unary_opIfEEEPS6_S6_23summary_stats_binary_opIfEEE10hipError_tPvRmT1_T2_T3_mT4_P12ihipStream_tbEUlT_E1_NS1_11comp_targetILNS1_3genE0ELNS1_11target_archE4294967295ELNS1_3gpuE0ELNS1_3repE0EEENS1_30default_config_static_selectorELNS0_4arch9wavefront6targetE1EEEvSR_.has_dyn_sized_stack, 0
	.set _ZN7rocprim17ROCPRIM_400000_NS6detail17trampoline_kernelINS0_14default_configENS1_22reduce_config_selectorI18summary_stats_dataIfEEEZNS1_11reduce_implILb1ES3_N6thrust23THRUST_200600_302600_NS11hip_rocprim26transform_input_iterator_tIS6_NSA_6detail15normal_iteratorINSA_10device_ptrIfEEEE22summary_stats_unary_opIfEEEPS6_S6_23summary_stats_binary_opIfEEE10hipError_tPvRmT1_T2_T3_mT4_P12ihipStream_tbEUlT_E1_NS1_11comp_targetILNS1_3genE0ELNS1_11target_archE4294967295ELNS1_3gpuE0ELNS1_3repE0EEENS1_30default_config_static_selectorELNS0_4arch9wavefront6targetE1EEEvSR_.has_recursion, 0
	.set _ZN7rocprim17ROCPRIM_400000_NS6detail17trampoline_kernelINS0_14default_configENS1_22reduce_config_selectorI18summary_stats_dataIfEEEZNS1_11reduce_implILb1ES3_N6thrust23THRUST_200600_302600_NS11hip_rocprim26transform_input_iterator_tIS6_NSA_6detail15normal_iteratorINSA_10device_ptrIfEEEE22summary_stats_unary_opIfEEEPS6_S6_23summary_stats_binary_opIfEEE10hipError_tPvRmT1_T2_T3_mT4_P12ihipStream_tbEUlT_E1_NS1_11comp_targetILNS1_3genE0ELNS1_11target_archE4294967295ELNS1_3gpuE0ELNS1_3repE0EEENS1_30default_config_static_selectorELNS0_4arch9wavefront6targetE1EEEvSR_.has_indirect_call, 0
	.section	.AMDGPU.csdata,"",@progbits
; Kernel info:
; codeLenInByte = 0
; TotalNumSgprs: 4
; NumVgprs: 0
; ScratchSize: 0
; MemoryBound: 0
; FloatMode: 240
; IeeeMode: 1
; LDSByteSize: 0 bytes/workgroup (compile time only)
; SGPRBlocks: 0
; VGPRBlocks: 0
; NumSGPRsForWavesPerEU: 4
; NumVGPRsForWavesPerEU: 1
; Occupancy: 10
; WaveLimiterHint : 0
; COMPUTE_PGM_RSRC2:SCRATCH_EN: 0
; COMPUTE_PGM_RSRC2:USER_SGPR: 6
; COMPUTE_PGM_RSRC2:TRAP_HANDLER: 0
; COMPUTE_PGM_RSRC2:TGID_X_EN: 1
; COMPUTE_PGM_RSRC2:TGID_Y_EN: 0
; COMPUTE_PGM_RSRC2:TGID_Z_EN: 0
; COMPUTE_PGM_RSRC2:TIDIG_COMP_CNT: 0
	.section	.text._ZN7rocprim17ROCPRIM_400000_NS6detail17trampoline_kernelINS0_14default_configENS1_22reduce_config_selectorI18summary_stats_dataIfEEEZNS1_11reduce_implILb1ES3_N6thrust23THRUST_200600_302600_NS11hip_rocprim26transform_input_iterator_tIS6_NSA_6detail15normal_iteratorINSA_10device_ptrIfEEEE22summary_stats_unary_opIfEEEPS6_S6_23summary_stats_binary_opIfEEE10hipError_tPvRmT1_T2_T3_mT4_P12ihipStream_tbEUlT_E1_NS1_11comp_targetILNS1_3genE5ELNS1_11target_archE942ELNS1_3gpuE9ELNS1_3repE0EEENS1_30default_config_static_selectorELNS0_4arch9wavefront6targetE1EEEvSR_,"axG",@progbits,_ZN7rocprim17ROCPRIM_400000_NS6detail17trampoline_kernelINS0_14default_configENS1_22reduce_config_selectorI18summary_stats_dataIfEEEZNS1_11reduce_implILb1ES3_N6thrust23THRUST_200600_302600_NS11hip_rocprim26transform_input_iterator_tIS6_NSA_6detail15normal_iteratorINSA_10device_ptrIfEEEE22summary_stats_unary_opIfEEEPS6_S6_23summary_stats_binary_opIfEEE10hipError_tPvRmT1_T2_T3_mT4_P12ihipStream_tbEUlT_E1_NS1_11comp_targetILNS1_3genE5ELNS1_11target_archE942ELNS1_3gpuE9ELNS1_3repE0EEENS1_30default_config_static_selectorELNS0_4arch9wavefront6targetE1EEEvSR_,comdat
	.protected	_ZN7rocprim17ROCPRIM_400000_NS6detail17trampoline_kernelINS0_14default_configENS1_22reduce_config_selectorI18summary_stats_dataIfEEEZNS1_11reduce_implILb1ES3_N6thrust23THRUST_200600_302600_NS11hip_rocprim26transform_input_iterator_tIS6_NSA_6detail15normal_iteratorINSA_10device_ptrIfEEEE22summary_stats_unary_opIfEEEPS6_S6_23summary_stats_binary_opIfEEE10hipError_tPvRmT1_T2_T3_mT4_P12ihipStream_tbEUlT_E1_NS1_11comp_targetILNS1_3genE5ELNS1_11target_archE942ELNS1_3gpuE9ELNS1_3repE0EEENS1_30default_config_static_selectorELNS0_4arch9wavefront6targetE1EEEvSR_ ; -- Begin function _ZN7rocprim17ROCPRIM_400000_NS6detail17trampoline_kernelINS0_14default_configENS1_22reduce_config_selectorI18summary_stats_dataIfEEEZNS1_11reduce_implILb1ES3_N6thrust23THRUST_200600_302600_NS11hip_rocprim26transform_input_iterator_tIS6_NSA_6detail15normal_iteratorINSA_10device_ptrIfEEEE22summary_stats_unary_opIfEEEPS6_S6_23summary_stats_binary_opIfEEE10hipError_tPvRmT1_T2_T3_mT4_P12ihipStream_tbEUlT_E1_NS1_11comp_targetILNS1_3genE5ELNS1_11target_archE942ELNS1_3gpuE9ELNS1_3repE0EEENS1_30default_config_static_selectorELNS0_4arch9wavefront6targetE1EEEvSR_
	.globl	_ZN7rocprim17ROCPRIM_400000_NS6detail17trampoline_kernelINS0_14default_configENS1_22reduce_config_selectorI18summary_stats_dataIfEEEZNS1_11reduce_implILb1ES3_N6thrust23THRUST_200600_302600_NS11hip_rocprim26transform_input_iterator_tIS6_NSA_6detail15normal_iteratorINSA_10device_ptrIfEEEE22summary_stats_unary_opIfEEEPS6_S6_23summary_stats_binary_opIfEEE10hipError_tPvRmT1_T2_T3_mT4_P12ihipStream_tbEUlT_E1_NS1_11comp_targetILNS1_3genE5ELNS1_11target_archE942ELNS1_3gpuE9ELNS1_3repE0EEENS1_30default_config_static_selectorELNS0_4arch9wavefront6targetE1EEEvSR_
	.p2align	8
	.type	_ZN7rocprim17ROCPRIM_400000_NS6detail17trampoline_kernelINS0_14default_configENS1_22reduce_config_selectorI18summary_stats_dataIfEEEZNS1_11reduce_implILb1ES3_N6thrust23THRUST_200600_302600_NS11hip_rocprim26transform_input_iterator_tIS6_NSA_6detail15normal_iteratorINSA_10device_ptrIfEEEE22summary_stats_unary_opIfEEEPS6_S6_23summary_stats_binary_opIfEEE10hipError_tPvRmT1_T2_T3_mT4_P12ihipStream_tbEUlT_E1_NS1_11comp_targetILNS1_3genE5ELNS1_11target_archE942ELNS1_3gpuE9ELNS1_3repE0EEENS1_30default_config_static_selectorELNS0_4arch9wavefront6targetE1EEEvSR_,@function
_ZN7rocprim17ROCPRIM_400000_NS6detail17trampoline_kernelINS0_14default_configENS1_22reduce_config_selectorI18summary_stats_dataIfEEEZNS1_11reduce_implILb1ES3_N6thrust23THRUST_200600_302600_NS11hip_rocprim26transform_input_iterator_tIS6_NSA_6detail15normal_iteratorINSA_10device_ptrIfEEEE22summary_stats_unary_opIfEEEPS6_S6_23summary_stats_binary_opIfEEE10hipError_tPvRmT1_T2_T3_mT4_P12ihipStream_tbEUlT_E1_NS1_11comp_targetILNS1_3genE5ELNS1_11target_archE942ELNS1_3gpuE9ELNS1_3repE0EEENS1_30default_config_static_selectorELNS0_4arch9wavefront6targetE1EEEvSR_: ; @_ZN7rocprim17ROCPRIM_400000_NS6detail17trampoline_kernelINS0_14default_configENS1_22reduce_config_selectorI18summary_stats_dataIfEEEZNS1_11reduce_implILb1ES3_N6thrust23THRUST_200600_302600_NS11hip_rocprim26transform_input_iterator_tIS6_NSA_6detail15normal_iteratorINSA_10device_ptrIfEEEE22summary_stats_unary_opIfEEEPS6_S6_23summary_stats_binary_opIfEEE10hipError_tPvRmT1_T2_T3_mT4_P12ihipStream_tbEUlT_E1_NS1_11comp_targetILNS1_3genE5ELNS1_11target_archE942ELNS1_3gpuE9ELNS1_3repE0EEENS1_30default_config_static_selectorELNS0_4arch9wavefront6targetE1EEEvSR_
; %bb.0:
	.section	.rodata,"a",@progbits
	.p2align	6, 0x0
	.amdhsa_kernel _ZN7rocprim17ROCPRIM_400000_NS6detail17trampoline_kernelINS0_14default_configENS1_22reduce_config_selectorI18summary_stats_dataIfEEEZNS1_11reduce_implILb1ES3_N6thrust23THRUST_200600_302600_NS11hip_rocprim26transform_input_iterator_tIS6_NSA_6detail15normal_iteratorINSA_10device_ptrIfEEEE22summary_stats_unary_opIfEEEPS6_S6_23summary_stats_binary_opIfEEE10hipError_tPvRmT1_T2_T3_mT4_P12ihipStream_tbEUlT_E1_NS1_11comp_targetILNS1_3genE5ELNS1_11target_archE942ELNS1_3gpuE9ELNS1_3repE0EEENS1_30default_config_static_selectorELNS0_4arch9wavefront6targetE1EEEvSR_
		.amdhsa_group_segment_fixed_size 0
		.amdhsa_private_segment_fixed_size 0
		.amdhsa_kernarg_size 72
		.amdhsa_user_sgpr_count 6
		.amdhsa_user_sgpr_private_segment_buffer 1
		.amdhsa_user_sgpr_dispatch_ptr 0
		.amdhsa_user_sgpr_queue_ptr 0
		.amdhsa_user_sgpr_kernarg_segment_ptr 1
		.amdhsa_user_sgpr_dispatch_id 0
		.amdhsa_user_sgpr_flat_scratch_init 0
		.amdhsa_user_sgpr_private_segment_size 0
		.amdhsa_uses_dynamic_stack 0
		.amdhsa_system_sgpr_private_segment_wavefront_offset 0
		.amdhsa_system_sgpr_workgroup_id_x 1
		.amdhsa_system_sgpr_workgroup_id_y 0
		.amdhsa_system_sgpr_workgroup_id_z 0
		.amdhsa_system_sgpr_workgroup_info 0
		.amdhsa_system_vgpr_workitem_id 0
		.amdhsa_next_free_vgpr 1
		.amdhsa_next_free_sgpr 0
		.amdhsa_reserve_vcc 0
		.amdhsa_reserve_flat_scratch 0
		.amdhsa_float_round_mode_32 0
		.amdhsa_float_round_mode_16_64 0
		.amdhsa_float_denorm_mode_32 3
		.amdhsa_float_denorm_mode_16_64 3
		.amdhsa_dx10_clamp 1
		.amdhsa_ieee_mode 1
		.amdhsa_fp16_overflow 0
		.amdhsa_exception_fp_ieee_invalid_op 0
		.amdhsa_exception_fp_denorm_src 0
		.amdhsa_exception_fp_ieee_div_zero 0
		.amdhsa_exception_fp_ieee_overflow 0
		.amdhsa_exception_fp_ieee_underflow 0
		.amdhsa_exception_fp_ieee_inexact 0
		.amdhsa_exception_int_div_zero 0
	.end_amdhsa_kernel
	.section	.text._ZN7rocprim17ROCPRIM_400000_NS6detail17trampoline_kernelINS0_14default_configENS1_22reduce_config_selectorI18summary_stats_dataIfEEEZNS1_11reduce_implILb1ES3_N6thrust23THRUST_200600_302600_NS11hip_rocprim26transform_input_iterator_tIS6_NSA_6detail15normal_iteratorINSA_10device_ptrIfEEEE22summary_stats_unary_opIfEEEPS6_S6_23summary_stats_binary_opIfEEE10hipError_tPvRmT1_T2_T3_mT4_P12ihipStream_tbEUlT_E1_NS1_11comp_targetILNS1_3genE5ELNS1_11target_archE942ELNS1_3gpuE9ELNS1_3repE0EEENS1_30default_config_static_selectorELNS0_4arch9wavefront6targetE1EEEvSR_,"axG",@progbits,_ZN7rocprim17ROCPRIM_400000_NS6detail17trampoline_kernelINS0_14default_configENS1_22reduce_config_selectorI18summary_stats_dataIfEEEZNS1_11reduce_implILb1ES3_N6thrust23THRUST_200600_302600_NS11hip_rocprim26transform_input_iterator_tIS6_NSA_6detail15normal_iteratorINSA_10device_ptrIfEEEE22summary_stats_unary_opIfEEEPS6_S6_23summary_stats_binary_opIfEEE10hipError_tPvRmT1_T2_T3_mT4_P12ihipStream_tbEUlT_E1_NS1_11comp_targetILNS1_3genE5ELNS1_11target_archE942ELNS1_3gpuE9ELNS1_3repE0EEENS1_30default_config_static_selectorELNS0_4arch9wavefront6targetE1EEEvSR_,comdat
.Lfunc_end28:
	.size	_ZN7rocprim17ROCPRIM_400000_NS6detail17trampoline_kernelINS0_14default_configENS1_22reduce_config_selectorI18summary_stats_dataIfEEEZNS1_11reduce_implILb1ES3_N6thrust23THRUST_200600_302600_NS11hip_rocprim26transform_input_iterator_tIS6_NSA_6detail15normal_iteratorINSA_10device_ptrIfEEEE22summary_stats_unary_opIfEEEPS6_S6_23summary_stats_binary_opIfEEE10hipError_tPvRmT1_T2_T3_mT4_P12ihipStream_tbEUlT_E1_NS1_11comp_targetILNS1_3genE5ELNS1_11target_archE942ELNS1_3gpuE9ELNS1_3repE0EEENS1_30default_config_static_selectorELNS0_4arch9wavefront6targetE1EEEvSR_, .Lfunc_end28-_ZN7rocprim17ROCPRIM_400000_NS6detail17trampoline_kernelINS0_14default_configENS1_22reduce_config_selectorI18summary_stats_dataIfEEEZNS1_11reduce_implILb1ES3_N6thrust23THRUST_200600_302600_NS11hip_rocprim26transform_input_iterator_tIS6_NSA_6detail15normal_iteratorINSA_10device_ptrIfEEEE22summary_stats_unary_opIfEEEPS6_S6_23summary_stats_binary_opIfEEE10hipError_tPvRmT1_T2_T3_mT4_P12ihipStream_tbEUlT_E1_NS1_11comp_targetILNS1_3genE5ELNS1_11target_archE942ELNS1_3gpuE9ELNS1_3repE0EEENS1_30default_config_static_selectorELNS0_4arch9wavefront6targetE1EEEvSR_
                                        ; -- End function
	.set _ZN7rocprim17ROCPRIM_400000_NS6detail17trampoline_kernelINS0_14default_configENS1_22reduce_config_selectorI18summary_stats_dataIfEEEZNS1_11reduce_implILb1ES3_N6thrust23THRUST_200600_302600_NS11hip_rocprim26transform_input_iterator_tIS6_NSA_6detail15normal_iteratorINSA_10device_ptrIfEEEE22summary_stats_unary_opIfEEEPS6_S6_23summary_stats_binary_opIfEEE10hipError_tPvRmT1_T2_T3_mT4_P12ihipStream_tbEUlT_E1_NS1_11comp_targetILNS1_3genE5ELNS1_11target_archE942ELNS1_3gpuE9ELNS1_3repE0EEENS1_30default_config_static_selectorELNS0_4arch9wavefront6targetE1EEEvSR_.num_vgpr, 0
	.set _ZN7rocprim17ROCPRIM_400000_NS6detail17trampoline_kernelINS0_14default_configENS1_22reduce_config_selectorI18summary_stats_dataIfEEEZNS1_11reduce_implILb1ES3_N6thrust23THRUST_200600_302600_NS11hip_rocprim26transform_input_iterator_tIS6_NSA_6detail15normal_iteratorINSA_10device_ptrIfEEEE22summary_stats_unary_opIfEEEPS6_S6_23summary_stats_binary_opIfEEE10hipError_tPvRmT1_T2_T3_mT4_P12ihipStream_tbEUlT_E1_NS1_11comp_targetILNS1_3genE5ELNS1_11target_archE942ELNS1_3gpuE9ELNS1_3repE0EEENS1_30default_config_static_selectorELNS0_4arch9wavefront6targetE1EEEvSR_.num_agpr, 0
	.set _ZN7rocprim17ROCPRIM_400000_NS6detail17trampoline_kernelINS0_14default_configENS1_22reduce_config_selectorI18summary_stats_dataIfEEEZNS1_11reduce_implILb1ES3_N6thrust23THRUST_200600_302600_NS11hip_rocprim26transform_input_iterator_tIS6_NSA_6detail15normal_iteratorINSA_10device_ptrIfEEEE22summary_stats_unary_opIfEEEPS6_S6_23summary_stats_binary_opIfEEE10hipError_tPvRmT1_T2_T3_mT4_P12ihipStream_tbEUlT_E1_NS1_11comp_targetILNS1_3genE5ELNS1_11target_archE942ELNS1_3gpuE9ELNS1_3repE0EEENS1_30default_config_static_selectorELNS0_4arch9wavefront6targetE1EEEvSR_.numbered_sgpr, 0
	.set _ZN7rocprim17ROCPRIM_400000_NS6detail17trampoline_kernelINS0_14default_configENS1_22reduce_config_selectorI18summary_stats_dataIfEEEZNS1_11reduce_implILb1ES3_N6thrust23THRUST_200600_302600_NS11hip_rocprim26transform_input_iterator_tIS6_NSA_6detail15normal_iteratorINSA_10device_ptrIfEEEE22summary_stats_unary_opIfEEEPS6_S6_23summary_stats_binary_opIfEEE10hipError_tPvRmT1_T2_T3_mT4_P12ihipStream_tbEUlT_E1_NS1_11comp_targetILNS1_3genE5ELNS1_11target_archE942ELNS1_3gpuE9ELNS1_3repE0EEENS1_30default_config_static_selectorELNS0_4arch9wavefront6targetE1EEEvSR_.num_named_barrier, 0
	.set _ZN7rocprim17ROCPRIM_400000_NS6detail17trampoline_kernelINS0_14default_configENS1_22reduce_config_selectorI18summary_stats_dataIfEEEZNS1_11reduce_implILb1ES3_N6thrust23THRUST_200600_302600_NS11hip_rocprim26transform_input_iterator_tIS6_NSA_6detail15normal_iteratorINSA_10device_ptrIfEEEE22summary_stats_unary_opIfEEEPS6_S6_23summary_stats_binary_opIfEEE10hipError_tPvRmT1_T2_T3_mT4_P12ihipStream_tbEUlT_E1_NS1_11comp_targetILNS1_3genE5ELNS1_11target_archE942ELNS1_3gpuE9ELNS1_3repE0EEENS1_30default_config_static_selectorELNS0_4arch9wavefront6targetE1EEEvSR_.private_seg_size, 0
	.set _ZN7rocprim17ROCPRIM_400000_NS6detail17trampoline_kernelINS0_14default_configENS1_22reduce_config_selectorI18summary_stats_dataIfEEEZNS1_11reduce_implILb1ES3_N6thrust23THRUST_200600_302600_NS11hip_rocprim26transform_input_iterator_tIS6_NSA_6detail15normal_iteratorINSA_10device_ptrIfEEEE22summary_stats_unary_opIfEEEPS6_S6_23summary_stats_binary_opIfEEE10hipError_tPvRmT1_T2_T3_mT4_P12ihipStream_tbEUlT_E1_NS1_11comp_targetILNS1_3genE5ELNS1_11target_archE942ELNS1_3gpuE9ELNS1_3repE0EEENS1_30default_config_static_selectorELNS0_4arch9wavefront6targetE1EEEvSR_.uses_vcc, 0
	.set _ZN7rocprim17ROCPRIM_400000_NS6detail17trampoline_kernelINS0_14default_configENS1_22reduce_config_selectorI18summary_stats_dataIfEEEZNS1_11reduce_implILb1ES3_N6thrust23THRUST_200600_302600_NS11hip_rocprim26transform_input_iterator_tIS6_NSA_6detail15normal_iteratorINSA_10device_ptrIfEEEE22summary_stats_unary_opIfEEEPS6_S6_23summary_stats_binary_opIfEEE10hipError_tPvRmT1_T2_T3_mT4_P12ihipStream_tbEUlT_E1_NS1_11comp_targetILNS1_3genE5ELNS1_11target_archE942ELNS1_3gpuE9ELNS1_3repE0EEENS1_30default_config_static_selectorELNS0_4arch9wavefront6targetE1EEEvSR_.uses_flat_scratch, 0
	.set _ZN7rocprim17ROCPRIM_400000_NS6detail17trampoline_kernelINS0_14default_configENS1_22reduce_config_selectorI18summary_stats_dataIfEEEZNS1_11reduce_implILb1ES3_N6thrust23THRUST_200600_302600_NS11hip_rocprim26transform_input_iterator_tIS6_NSA_6detail15normal_iteratorINSA_10device_ptrIfEEEE22summary_stats_unary_opIfEEEPS6_S6_23summary_stats_binary_opIfEEE10hipError_tPvRmT1_T2_T3_mT4_P12ihipStream_tbEUlT_E1_NS1_11comp_targetILNS1_3genE5ELNS1_11target_archE942ELNS1_3gpuE9ELNS1_3repE0EEENS1_30default_config_static_selectorELNS0_4arch9wavefront6targetE1EEEvSR_.has_dyn_sized_stack, 0
	.set _ZN7rocprim17ROCPRIM_400000_NS6detail17trampoline_kernelINS0_14default_configENS1_22reduce_config_selectorI18summary_stats_dataIfEEEZNS1_11reduce_implILb1ES3_N6thrust23THRUST_200600_302600_NS11hip_rocprim26transform_input_iterator_tIS6_NSA_6detail15normal_iteratorINSA_10device_ptrIfEEEE22summary_stats_unary_opIfEEEPS6_S6_23summary_stats_binary_opIfEEE10hipError_tPvRmT1_T2_T3_mT4_P12ihipStream_tbEUlT_E1_NS1_11comp_targetILNS1_3genE5ELNS1_11target_archE942ELNS1_3gpuE9ELNS1_3repE0EEENS1_30default_config_static_selectorELNS0_4arch9wavefront6targetE1EEEvSR_.has_recursion, 0
	.set _ZN7rocprim17ROCPRIM_400000_NS6detail17trampoline_kernelINS0_14default_configENS1_22reduce_config_selectorI18summary_stats_dataIfEEEZNS1_11reduce_implILb1ES3_N6thrust23THRUST_200600_302600_NS11hip_rocprim26transform_input_iterator_tIS6_NSA_6detail15normal_iteratorINSA_10device_ptrIfEEEE22summary_stats_unary_opIfEEEPS6_S6_23summary_stats_binary_opIfEEE10hipError_tPvRmT1_T2_T3_mT4_P12ihipStream_tbEUlT_E1_NS1_11comp_targetILNS1_3genE5ELNS1_11target_archE942ELNS1_3gpuE9ELNS1_3repE0EEENS1_30default_config_static_selectorELNS0_4arch9wavefront6targetE1EEEvSR_.has_indirect_call, 0
	.section	.AMDGPU.csdata,"",@progbits
; Kernel info:
; codeLenInByte = 0
; TotalNumSgprs: 4
; NumVgprs: 0
; ScratchSize: 0
; MemoryBound: 0
; FloatMode: 240
; IeeeMode: 1
; LDSByteSize: 0 bytes/workgroup (compile time only)
; SGPRBlocks: 0
; VGPRBlocks: 0
; NumSGPRsForWavesPerEU: 4
; NumVGPRsForWavesPerEU: 1
; Occupancy: 10
; WaveLimiterHint : 0
; COMPUTE_PGM_RSRC2:SCRATCH_EN: 0
; COMPUTE_PGM_RSRC2:USER_SGPR: 6
; COMPUTE_PGM_RSRC2:TRAP_HANDLER: 0
; COMPUTE_PGM_RSRC2:TGID_X_EN: 1
; COMPUTE_PGM_RSRC2:TGID_Y_EN: 0
; COMPUTE_PGM_RSRC2:TGID_Z_EN: 0
; COMPUTE_PGM_RSRC2:TIDIG_COMP_CNT: 0
	.section	.text._ZN7rocprim17ROCPRIM_400000_NS6detail17trampoline_kernelINS0_14default_configENS1_22reduce_config_selectorI18summary_stats_dataIfEEEZNS1_11reduce_implILb1ES3_N6thrust23THRUST_200600_302600_NS11hip_rocprim26transform_input_iterator_tIS6_NSA_6detail15normal_iteratorINSA_10device_ptrIfEEEE22summary_stats_unary_opIfEEEPS6_S6_23summary_stats_binary_opIfEEE10hipError_tPvRmT1_T2_T3_mT4_P12ihipStream_tbEUlT_E1_NS1_11comp_targetILNS1_3genE4ELNS1_11target_archE910ELNS1_3gpuE8ELNS1_3repE0EEENS1_30default_config_static_selectorELNS0_4arch9wavefront6targetE1EEEvSR_,"axG",@progbits,_ZN7rocprim17ROCPRIM_400000_NS6detail17trampoline_kernelINS0_14default_configENS1_22reduce_config_selectorI18summary_stats_dataIfEEEZNS1_11reduce_implILb1ES3_N6thrust23THRUST_200600_302600_NS11hip_rocprim26transform_input_iterator_tIS6_NSA_6detail15normal_iteratorINSA_10device_ptrIfEEEE22summary_stats_unary_opIfEEEPS6_S6_23summary_stats_binary_opIfEEE10hipError_tPvRmT1_T2_T3_mT4_P12ihipStream_tbEUlT_E1_NS1_11comp_targetILNS1_3genE4ELNS1_11target_archE910ELNS1_3gpuE8ELNS1_3repE0EEENS1_30default_config_static_selectorELNS0_4arch9wavefront6targetE1EEEvSR_,comdat
	.protected	_ZN7rocprim17ROCPRIM_400000_NS6detail17trampoline_kernelINS0_14default_configENS1_22reduce_config_selectorI18summary_stats_dataIfEEEZNS1_11reduce_implILb1ES3_N6thrust23THRUST_200600_302600_NS11hip_rocprim26transform_input_iterator_tIS6_NSA_6detail15normal_iteratorINSA_10device_ptrIfEEEE22summary_stats_unary_opIfEEEPS6_S6_23summary_stats_binary_opIfEEE10hipError_tPvRmT1_T2_T3_mT4_P12ihipStream_tbEUlT_E1_NS1_11comp_targetILNS1_3genE4ELNS1_11target_archE910ELNS1_3gpuE8ELNS1_3repE0EEENS1_30default_config_static_selectorELNS0_4arch9wavefront6targetE1EEEvSR_ ; -- Begin function _ZN7rocprim17ROCPRIM_400000_NS6detail17trampoline_kernelINS0_14default_configENS1_22reduce_config_selectorI18summary_stats_dataIfEEEZNS1_11reduce_implILb1ES3_N6thrust23THRUST_200600_302600_NS11hip_rocprim26transform_input_iterator_tIS6_NSA_6detail15normal_iteratorINSA_10device_ptrIfEEEE22summary_stats_unary_opIfEEEPS6_S6_23summary_stats_binary_opIfEEE10hipError_tPvRmT1_T2_T3_mT4_P12ihipStream_tbEUlT_E1_NS1_11comp_targetILNS1_3genE4ELNS1_11target_archE910ELNS1_3gpuE8ELNS1_3repE0EEENS1_30default_config_static_selectorELNS0_4arch9wavefront6targetE1EEEvSR_
	.globl	_ZN7rocprim17ROCPRIM_400000_NS6detail17trampoline_kernelINS0_14default_configENS1_22reduce_config_selectorI18summary_stats_dataIfEEEZNS1_11reduce_implILb1ES3_N6thrust23THRUST_200600_302600_NS11hip_rocprim26transform_input_iterator_tIS6_NSA_6detail15normal_iteratorINSA_10device_ptrIfEEEE22summary_stats_unary_opIfEEEPS6_S6_23summary_stats_binary_opIfEEE10hipError_tPvRmT1_T2_T3_mT4_P12ihipStream_tbEUlT_E1_NS1_11comp_targetILNS1_3genE4ELNS1_11target_archE910ELNS1_3gpuE8ELNS1_3repE0EEENS1_30default_config_static_selectorELNS0_4arch9wavefront6targetE1EEEvSR_
	.p2align	8
	.type	_ZN7rocprim17ROCPRIM_400000_NS6detail17trampoline_kernelINS0_14default_configENS1_22reduce_config_selectorI18summary_stats_dataIfEEEZNS1_11reduce_implILb1ES3_N6thrust23THRUST_200600_302600_NS11hip_rocprim26transform_input_iterator_tIS6_NSA_6detail15normal_iteratorINSA_10device_ptrIfEEEE22summary_stats_unary_opIfEEEPS6_S6_23summary_stats_binary_opIfEEE10hipError_tPvRmT1_T2_T3_mT4_P12ihipStream_tbEUlT_E1_NS1_11comp_targetILNS1_3genE4ELNS1_11target_archE910ELNS1_3gpuE8ELNS1_3repE0EEENS1_30default_config_static_selectorELNS0_4arch9wavefront6targetE1EEEvSR_,@function
_ZN7rocprim17ROCPRIM_400000_NS6detail17trampoline_kernelINS0_14default_configENS1_22reduce_config_selectorI18summary_stats_dataIfEEEZNS1_11reduce_implILb1ES3_N6thrust23THRUST_200600_302600_NS11hip_rocprim26transform_input_iterator_tIS6_NSA_6detail15normal_iteratorINSA_10device_ptrIfEEEE22summary_stats_unary_opIfEEEPS6_S6_23summary_stats_binary_opIfEEE10hipError_tPvRmT1_T2_T3_mT4_P12ihipStream_tbEUlT_E1_NS1_11comp_targetILNS1_3genE4ELNS1_11target_archE910ELNS1_3gpuE8ELNS1_3repE0EEENS1_30default_config_static_selectorELNS0_4arch9wavefront6targetE1EEEvSR_: ; @_ZN7rocprim17ROCPRIM_400000_NS6detail17trampoline_kernelINS0_14default_configENS1_22reduce_config_selectorI18summary_stats_dataIfEEEZNS1_11reduce_implILb1ES3_N6thrust23THRUST_200600_302600_NS11hip_rocprim26transform_input_iterator_tIS6_NSA_6detail15normal_iteratorINSA_10device_ptrIfEEEE22summary_stats_unary_opIfEEEPS6_S6_23summary_stats_binary_opIfEEE10hipError_tPvRmT1_T2_T3_mT4_P12ihipStream_tbEUlT_E1_NS1_11comp_targetILNS1_3genE4ELNS1_11target_archE910ELNS1_3gpuE8ELNS1_3repE0EEENS1_30default_config_static_selectorELNS0_4arch9wavefront6targetE1EEEvSR_
; %bb.0:
	.section	.rodata,"a",@progbits
	.p2align	6, 0x0
	.amdhsa_kernel _ZN7rocprim17ROCPRIM_400000_NS6detail17trampoline_kernelINS0_14default_configENS1_22reduce_config_selectorI18summary_stats_dataIfEEEZNS1_11reduce_implILb1ES3_N6thrust23THRUST_200600_302600_NS11hip_rocprim26transform_input_iterator_tIS6_NSA_6detail15normal_iteratorINSA_10device_ptrIfEEEE22summary_stats_unary_opIfEEEPS6_S6_23summary_stats_binary_opIfEEE10hipError_tPvRmT1_T2_T3_mT4_P12ihipStream_tbEUlT_E1_NS1_11comp_targetILNS1_3genE4ELNS1_11target_archE910ELNS1_3gpuE8ELNS1_3repE0EEENS1_30default_config_static_selectorELNS0_4arch9wavefront6targetE1EEEvSR_
		.amdhsa_group_segment_fixed_size 0
		.amdhsa_private_segment_fixed_size 0
		.amdhsa_kernarg_size 72
		.amdhsa_user_sgpr_count 6
		.amdhsa_user_sgpr_private_segment_buffer 1
		.amdhsa_user_sgpr_dispatch_ptr 0
		.amdhsa_user_sgpr_queue_ptr 0
		.amdhsa_user_sgpr_kernarg_segment_ptr 1
		.amdhsa_user_sgpr_dispatch_id 0
		.amdhsa_user_sgpr_flat_scratch_init 0
		.amdhsa_user_sgpr_private_segment_size 0
		.amdhsa_uses_dynamic_stack 0
		.amdhsa_system_sgpr_private_segment_wavefront_offset 0
		.amdhsa_system_sgpr_workgroup_id_x 1
		.amdhsa_system_sgpr_workgroup_id_y 0
		.amdhsa_system_sgpr_workgroup_id_z 0
		.amdhsa_system_sgpr_workgroup_info 0
		.amdhsa_system_vgpr_workitem_id 0
		.amdhsa_next_free_vgpr 1
		.amdhsa_next_free_sgpr 0
		.amdhsa_reserve_vcc 0
		.amdhsa_reserve_flat_scratch 0
		.amdhsa_float_round_mode_32 0
		.amdhsa_float_round_mode_16_64 0
		.amdhsa_float_denorm_mode_32 3
		.amdhsa_float_denorm_mode_16_64 3
		.amdhsa_dx10_clamp 1
		.amdhsa_ieee_mode 1
		.amdhsa_fp16_overflow 0
		.amdhsa_exception_fp_ieee_invalid_op 0
		.amdhsa_exception_fp_denorm_src 0
		.amdhsa_exception_fp_ieee_div_zero 0
		.amdhsa_exception_fp_ieee_overflow 0
		.amdhsa_exception_fp_ieee_underflow 0
		.amdhsa_exception_fp_ieee_inexact 0
		.amdhsa_exception_int_div_zero 0
	.end_amdhsa_kernel
	.section	.text._ZN7rocprim17ROCPRIM_400000_NS6detail17trampoline_kernelINS0_14default_configENS1_22reduce_config_selectorI18summary_stats_dataIfEEEZNS1_11reduce_implILb1ES3_N6thrust23THRUST_200600_302600_NS11hip_rocprim26transform_input_iterator_tIS6_NSA_6detail15normal_iteratorINSA_10device_ptrIfEEEE22summary_stats_unary_opIfEEEPS6_S6_23summary_stats_binary_opIfEEE10hipError_tPvRmT1_T2_T3_mT4_P12ihipStream_tbEUlT_E1_NS1_11comp_targetILNS1_3genE4ELNS1_11target_archE910ELNS1_3gpuE8ELNS1_3repE0EEENS1_30default_config_static_selectorELNS0_4arch9wavefront6targetE1EEEvSR_,"axG",@progbits,_ZN7rocprim17ROCPRIM_400000_NS6detail17trampoline_kernelINS0_14default_configENS1_22reduce_config_selectorI18summary_stats_dataIfEEEZNS1_11reduce_implILb1ES3_N6thrust23THRUST_200600_302600_NS11hip_rocprim26transform_input_iterator_tIS6_NSA_6detail15normal_iteratorINSA_10device_ptrIfEEEE22summary_stats_unary_opIfEEEPS6_S6_23summary_stats_binary_opIfEEE10hipError_tPvRmT1_T2_T3_mT4_P12ihipStream_tbEUlT_E1_NS1_11comp_targetILNS1_3genE4ELNS1_11target_archE910ELNS1_3gpuE8ELNS1_3repE0EEENS1_30default_config_static_selectorELNS0_4arch9wavefront6targetE1EEEvSR_,comdat
.Lfunc_end29:
	.size	_ZN7rocprim17ROCPRIM_400000_NS6detail17trampoline_kernelINS0_14default_configENS1_22reduce_config_selectorI18summary_stats_dataIfEEEZNS1_11reduce_implILb1ES3_N6thrust23THRUST_200600_302600_NS11hip_rocprim26transform_input_iterator_tIS6_NSA_6detail15normal_iteratorINSA_10device_ptrIfEEEE22summary_stats_unary_opIfEEEPS6_S6_23summary_stats_binary_opIfEEE10hipError_tPvRmT1_T2_T3_mT4_P12ihipStream_tbEUlT_E1_NS1_11comp_targetILNS1_3genE4ELNS1_11target_archE910ELNS1_3gpuE8ELNS1_3repE0EEENS1_30default_config_static_selectorELNS0_4arch9wavefront6targetE1EEEvSR_, .Lfunc_end29-_ZN7rocprim17ROCPRIM_400000_NS6detail17trampoline_kernelINS0_14default_configENS1_22reduce_config_selectorI18summary_stats_dataIfEEEZNS1_11reduce_implILb1ES3_N6thrust23THRUST_200600_302600_NS11hip_rocprim26transform_input_iterator_tIS6_NSA_6detail15normal_iteratorINSA_10device_ptrIfEEEE22summary_stats_unary_opIfEEEPS6_S6_23summary_stats_binary_opIfEEE10hipError_tPvRmT1_T2_T3_mT4_P12ihipStream_tbEUlT_E1_NS1_11comp_targetILNS1_3genE4ELNS1_11target_archE910ELNS1_3gpuE8ELNS1_3repE0EEENS1_30default_config_static_selectorELNS0_4arch9wavefront6targetE1EEEvSR_
                                        ; -- End function
	.set _ZN7rocprim17ROCPRIM_400000_NS6detail17trampoline_kernelINS0_14default_configENS1_22reduce_config_selectorI18summary_stats_dataIfEEEZNS1_11reduce_implILb1ES3_N6thrust23THRUST_200600_302600_NS11hip_rocprim26transform_input_iterator_tIS6_NSA_6detail15normal_iteratorINSA_10device_ptrIfEEEE22summary_stats_unary_opIfEEEPS6_S6_23summary_stats_binary_opIfEEE10hipError_tPvRmT1_T2_T3_mT4_P12ihipStream_tbEUlT_E1_NS1_11comp_targetILNS1_3genE4ELNS1_11target_archE910ELNS1_3gpuE8ELNS1_3repE0EEENS1_30default_config_static_selectorELNS0_4arch9wavefront6targetE1EEEvSR_.num_vgpr, 0
	.set _ZN7rocprim17ROCPRIM_400000_NS6detail17trampoline_kernelINS0_14default_configENS1_22reduce_config_selectorI18summary_stats_dataIfEEEZNS1_11reduce_implILb1ES3_N6thrust23THRUST_200600_302600_NS11hip_rocprim26transform_input_iterator_tIS6_NSA_6detail15normal_iteratorINSA_10device_ptrIfEEEE22summary_stats_unary_opIfEEEPS6_S6_23summary_stats_binary_opIfEEE10hipError_tPvRmT1_T2_T3_mT4_P12ihipStream_tbEUlT_E1_NS1_11comp_targetILNS1_3genE4ELNS1_11target_archE910ELNS1_3gpuE8ELNS1_3repE0EEENS1_30default_config_static_selectorELNS0_4arch9wavefront6targetE1EEEvSR_.num_agpr, 0
	.set _ZN7rocprim17ROCPRIM_400000_NS6detail17trampoline_kernelINS0_14default_configENS1_22reduce_config_selectorI18summary_stats_dataIfEEEZNS1_11reduce_implILb1ES3_N6thrust23THRUST_200600_302600_NS11hip_rocprim26transform_input_iterator_tIS6_NSA_6detail15normal_iteratorINSA_10device_ptrIfEEEE22summary_stats_unary_opIfEEEPS6_S6_23summary_stats_binary_opIfEEE10hipError_tPvRmT1_T2_T3_mT4_P12ihipStream_tbEUlT_E1_NS1_11comp_targetILNS1_3genE4ELNS1_11target_archE910ELNS1_3gpuE8ELNS1_3repE0EEENS1_30default_config_static_selectorELNS0_4arch9wavefront6targetE1EEEvSR_.numbered_sgpr, 0
	.set _ZN7rocprim17ROCPRIM_400000_NS6detail17trampoline_kernelINS0_14default_configENS1_22reduce_config_selectorI18summary_stats_dataIfEEEZNS1_11reduce_implILb1ES3_N6thrust23THRUST_200600_302600_NS11hip_rocprim26transform_input_iterator_tIS6_NSA_6detail15normal_iteratorINSA_10device_ptrIfEEEE22summary_stats_unary_opIfEEEPS6_S6_23summary_stats_binary_opIfEEE10hipError_tPvRmT1_T2_T3_mT4_P12ihipStream_tbEUlT_E1_NS1_11comp_targetILNS1_3genE4ELNS1_11target_archE910ELNS1_3gpuE8ELNS1_3repE0EEENS1_30default_config_static_selectorELNS0_4arch9wavefront6targetE1EEEvSR_.num_named_barrier, 0
	.set _ZN7rocprim17ROCPRIM_400000_NS6detail17trampoline_kernelINS0_14default_configENS1_22reduce_config_selectorI18summary_stats_dataIfEEEZNS1_11reduce_implILb1ES3_N6thrust23THRUST_200600_302600_NS11hip_rocprim26transform_input_iterator_tIS6_NSA_6detail15normal_iteratorINSA_10device_ptrIfEEEE22summary_stats_unary_opIfEEEPS6_S6_23summary_stats_binary_opIfEEE10hipError_tPvRmT1_T2_T3_mT4_P12ihipStream_tbEUlT_E1_NS1_11comp_targetILNS1_3genE4ELNS1_11target_archE910ELNS1_3gpuE8ELNS1_3repE0EEENS1_30default_config_static_selectorELNS0_4arch9wavefront6targetE1EEEvSR_.private_seg_size, 0
	.set _ZN7rocprim17ROCPRIM_400000_NS6detail17trampoline_kernelINS0_14default_configENS1_22reduce_config_selectorI18summary_stats_dataIfEEEZNS1_11reduce_implILb1ES3_N6thrust23THRUST_200600_302600_NS11hip_rocprim26transform_input_iterator_tIS6_NSA_6detail15normal_iteratorINSA_10device_ptrIfEEEE22summary_stats_unary_opIfEEEPS6_S6_23summary_stats_binary_opIfEEE10hipError_tPvRmT1_T2_T3_mT4_P12ihipStream_tbEUlT_E1_NS1_11comp_targetILNS1_3genE4ELNS1_11target_archE910ELNS1_3gpuE8ELNS1_3repE0EEENS1_30default_config_static_selectorELNS0_4arch9wavefront6targetE1EEEvSR_.uses_vcc, 0
	.set _ZN7rocprim17ROCPRIM_400000_NS6detail17trampoline_kernelINS0_14default_configENS1_22reduce_config_selectorI18summary_stats_dataIfEEEZNS1_11reduce_implILb1ES3_N6thrust23THRUST_200600_302600_NS11hip_rocprim26transform_input_iterator_tIS6_NSA_6detail15normal_iteratorINSA_10device_ptrIfEEEE22summary_stats_unary_opIfEEEPS6_S6_23summary_stats_binary_opIfEEE10hipError_tPvRmT1_T2_T3_mT4_P12ihipStream_tbEUlT_E1_NS1_11comp_targetILNS1_3genE4ELNS1_11target_archE910ELNS1_3gpuE8ELNS1_3repE0EEENS1_30default_config_static_selectorELNS0_4arch9wavefront6targetE1EEEvSR_.uses_flat_scratch, 0
	.set _ZN7rocprim17ROCPRIM_400000_NS6detail17trampoline_kernelINS0_14default_configENS1_22reduce_config_selectorI18summary_stats_dataIfEEEZNS1_11reduce_implILb1ES3_N6thrust23THRUST_200600_302600_NS11hip_rocprim26transform_input_iterator_tIS6_NSA_6detail15normal_iteratorINSA_10device_ptrIfEEEE22summary_stats_unary_opIfEEEPS6_S6_23summary_stats_binary_opIfEEE10hipError_tPvRmT1_T2_T3_mT4_P12ihipStream_tbEUlT_E1_NS1_11comp_targetILNS1_3genE4ELNS1_11target_archE910ELNS1_3gpuE8ELNS1_3repE0EEENS1_30default_config_static_selectorELNS0_4arch9wavefront6targetE1EEEvSR_.has_dyn_sized_stack, 0
	.set _ZN7rocprim17ROCPRIM_400000_NS6detail17trampoline_kernelINS0_14default_configENS1_22reduce_config_selectorI18summary_stats_dataIfEEEZNS1_11reduce_implILb1ES3_N6thrust23THRUST_200600_302600_NS11hip_rocprim26transform_input_iterator_tIS6_NSA_6detail15normal_iteratorINSA_10device_ptrIfEEEE22summary_stats_unary_opIfEEEPS6_S6_23summary_stats_binary_opIfEEE10hipError_tPvRmT1_T2_T3_mT4_P12ihipStream_tbEUlT_E1_NS1_11comp_targetILNS1_3genE4ELNS1_11target_archE910ELNS1_3gpuE8ELNS1_3repE0EEENS1_30default_config_static_selectorELNS0_4arch9wavefront6targetE1EEEvSR_.has_recursion, 0
	.set _ZN7rocprim17ROCPRIM_400000_NS6detail17trampoline_kernelINS0_14default_configENS1_22reduce_config_selectorI18summary_stats_dataIfEEEZNS1_11reduce_implILb1ES3_N6thrust23THRUST_200600_302600_NS11hip_rocprim26transform_input_iterator_tIS6_NSA_6detail15normal_iteratorINSA_10device_ptrIfEEEE22summary_stats_unary_opIfEEEPS6_S6_23summary_stats_binary_opIfEEE10hipError_tPvRmT1_T2_T3_mT4_P12ihipStream_tbEUlT_E1_NS1_11comp_targetILNS1_3genE4ELNS1_11target_archE910ELNS1_3gpuE8ELNS1_3repE0EEENS1_30default_config_static_selectorELNS0_4arch9wavefront6targetE1EEEvSR_.has_indirect_call, 0
	.section	.AMDGPU.csdata,"",@progbits
; Kernel info:
; codeLenInByte = 0
; TotalNumSgprs: 4
; NumVgprs: 0
; ScratchSize: 0
; MemoryBound: 0
; FloatMode: 240
; IeeeMode: 1
; LDSByteSize: 0 bytes/workgroup (compile time only)
; SGPRBlocks: 0
; VGPRBlocks: 0
; NumSGPRsForWavesPerEU: 4
; NumVGPRsForWavesPerEU: 1
; Occupancy: 10
; WaveLimiterHint : 0
; COMPUTE_PGM_RSRC2:SCRATCH_EN: 0
; COMPUTE_PGM_RSRC2:USER_SGPR: 6
; COMPUTE_PGM_RSRC2:TRAP_HANDLER: 0
; COMPUTE_PGM_RSRC2:TGID_X_EN: 1
; COMPUTE_PGM_RSRC2:TGID_Y_EN: 0
; COMPUTE_PGM_RSRC2:TGID_Z_EN: 0
; COMPUTE_PGM_RSRC2:TIDIG_COMP_CNT: 0
	.section	.text._ZN7rocprim17ROCPRIM_400000_NS6detail17trampoline_kernelINS0_14default_configENS1_22reduce_config_selectorI18summary_stats_dataIfEEEZNS1_11reduce_implILb1ES3_N6thrust23THRUST_200600_302600_NS11hip_rocprim26transform_input_iterator_tIS6_NSA_6detail15normal_iteratorINSA_10device_ptrIfEEEE22summary_stats_unary_opIfEEEPS6_S6_23summary_stats_binary_opIfEEE10hipError_tPvRmT1_T2_T3_mT4_P12ihipStream_tbEUlT_E1_NS1_11comp_targetILNS1_3genE3ELNS1_11target_archE908ELNS1_3gpuE7ELNS1_3repE0EEENS1_30default_config_static_selectorELNS0_4arch9wavefront6targetE1EEEvSR_,"axG",@progbits,_ZN7rocprim17ROCPRIM_400000_NS6detail17trampoline_kernelINS0_14default_configENS1_22reduce_config_selectorI18summary_stats_dataIfEEEZNS1_11reduce_implILb1ES3_N6thrust23THRUST_200600_302600_NS11hip_rocprim26transform_input_iterator_tIS6_NSA_6detail15normal_iteratorINSA_10device_ptrIfEEEE22summary_stats_unary_opIfEEEPS6_S6_23summary_stats_binary_opIfEEE10hipError_tPvRmT1_T2_T3_mT4_P12ihipStream_tbEUlT_E1_NS1_11comp_targetILNS1_3genE3ELNS1_11target_archE908ELNS1_3gpuE7ELNS1_3repE0EEENS1_30default_config_static_selectorELNS0_4arch9wavefront6targetE1EEEvSR_,comdat
	.protected	_ZN7rocprim17ROCPRIM_400000_NS6detail17trampoline_kernelINS0_14default_configENS1_22reduce_config_selectorI18summary_stats_dataIfEEEZNS1_11reduce_implILb1ES3_N6thrust23THRUST_200600_302600_NS11hip_rocprim26transform_input_iterator_tIS6_NSA_6detail15normal_iteratorINSA_10device_ptrIfEEEE22summary_stats_unary_opIfEEEPS6_S6_23summary_stats_binary_opIfEEE10hipError_tPvRmT1_T2_T3_mT4_P12ihipStream_tbEUlT_E1_NS1_11comp_targetILNS1_3genE3ELNS1_11target_archE908ELNS1_3gpuE7ELNS1_3repE0EEENS1_30default_config_static_selectorELNS0_4arch9wavefront6targetE1EEEvSR_ ; -- Begin function _ZN7rocprim17ROCPRIM_400000_NS6detail17trampoline_kernelINS0_14default_configENS1_22reduce_config_selectorI18summary_stats_dataIfEEEZNS1_11reduce_implILb1ES3_N6thrust23THRUST_200600_302600_NS11hip_rocprim26transform_input_iterator_tIS6_NSA_6detail15normal_iteratorINSA_10device_ptrIfEEEE22summary_stats_unary_opIfEEEPS6_S6_23summary_stats_binary_opIfEEE10hipError_tPvRmT1_T2_T3_mT4_P12ihipStream_tbEUlT_E1_NS1_11comp_targetILNS1_3genE3ELNS1_11target_archE908ELNS1_3gpuE7ELNS1_3repE0EEENS1_30default_config_static_selectorELNS0_4arch9wavefront6targetE1EEEvSR_
	.globl	_ZN7rocprim17ROCPRIM_400000_NS6detail17trampoline_kernelINS0_14default_configENS1_22reduce_config_selectorI18summary_stats_dataIfEEEZNS1_11reduce_implILb1ES3_N6thrust23THRUST_200600_302600_NS11hip_rocprim26transform_input_iterator_tIS6_NSA_6detail15normal_iteratorINSA_10device_ptrIfEEEE22summary_stats_unary_opIfEEEPS6_S6_23summary_stats_binary_opIfEEE10hipError_tPvRmT1_T2_T3_mT4_P12ihipStream_tbEUlT_E1_NS1_11comp_targetILNS1_3genE3ELNS1_11target_archE908ELNS1_3gpuE7ELNS1_3repE0EEENS1_30default_config_static_selectorELNS0_4arch9wavefront6targetE1EEEvSR_
	.p2align	8
	.type	_ZN7rocprim17ROCPRIM_400000_NS6detail17trampoline_kernelINS0_14default_configENS1_22reduce_config_selectorI18summary_stats_dataIfEEEZNS1_11reduce_implILb1ES3_N6thrust23THRUST_200600_302600_NS11hip_rocprim26transform_input_iterator_tIS6_NSA_6detail15normal_iteratorINSA_10device_ptrIfEEEE22summary_stats_unary_opIfEEEPS6_S6_23summary_stats_binary_opIfEEE10hipError_tPvRmT1_T2_T3_mT4_P12ihipStream_tbEUlT_E1_NS1_11comp_targetILNS1_3genE3ELNS1_11target_archE908ELNS1_3gpuE7ELNS1_3repE0EEENS1_30default_config_static_selectorELNS0_4arch9wavefront6targetE1EEEvSR_,@function
_ZN7rocprim17ROCPRIM_400000_NS6detail17trampoline_kernelINS0_14default_configENS1_22reduce_config_selectorI18summary_stats_dataIfEEEZNS1_11reduce_implILb1ES3_N6thrust23THRUST_200600_302600_NS11hip_rocprim26transform_input_iterator_tIS6_NSA_6detail15normal_iteratorINSA_10device_ptrIfEEEE22summary_stats_unary_opIfEEEPS6_S6_23summary_stats_binary_opIfEEE10hipError_tPvRmT1_T2_T3_mT4_P12ihipStream_tbEUlT_E1_NS1_11comp_targetILNS1_3genE3ELNS1_11target_archE908ELNS1_3gpuE7ELNS1_3repE0EEENS1_30default_config_static_selectorELNS0_4arch9wavefront6targetE1EEEvSR_: ; @_ZN7rocprim17ROCPRIM_400000_NS6detail17trampoline_kernelINS0_14default_configENS1_22reduce_config_selectorI18summary_stats_dataIfEEEZNS1_11reduce_implILb1ES3_N6thrust23THRUST_200600_302600_NS11hip_rocprim26transform_input_iterator_tIS6_NSA_6detail15normal_iteratorINSA_10device_ptrIfEEEE22summary_stats_unary_opIfEEEPS6_S6_23summary_stats_binary_opIfEEE10hipError_tPvRmT1_T2_T3_mT4_P12ihipStream_tbEUlT_E1_NS1_11comp_targetILNS1_3genE3ELNS1_11target_archE908ELNS1_3gpuE7ELNS1_3repE0EEENS1_30default_config_static_selectorELNS0_4arch9wavefront6targetE1EEEvSR_
; %bb.0:
	.section	.rodata,"a",@progbits
	.p2align	6, 0x0
	.amdhsa_kernel _ZN7rocprim17ROCPRIM_400000_NS6detail17trampoline_kernelINS0_14default_configENS1_22reduce_config_selectorI18summary_stats_dataIfEEEZNS1_11reduce_implILb1ES3_N6thrust23THRUST_200600_302600_NS11hip_rocprim26transform_input_iterator_tIS6_NSA_6detail15normal_iteratorINSA_10device_ptrIfEEEE22summary_stats_unary_opIfEEEPS6_S6_23summary_stats_binary_opIfEEE10hipError_tPvRmT1_T2_T3_mT4_P12ihipStream_tbEUlT_E1_NS1_11comp_targetILNS1_3genE3ELNS1_11target_archE908ELNS1_3gpuE7ELNS1_3repE0EEENS1_30default_config_static_selectorELNS0_4arch9wavefront6targetE1EEEvSR_
		.amdhsa_group_segment_fixed_size 0
		.amdhsa_private_segment_fixed_size 0
		.amdhsa_kernarg_size 72
		.amdhsa_user_sgpr_count 6
		.amdhsa_user_sgpr_private_segment_buffer 1
		.amdhsa_user_sgpr_dispatch_ptr 0
		.amdhsa_user_sgpr_queue_ptr 0
		.amdhsa_user_sgpr_kernarg_segment_ptr 1
		.amdhsa_user_sgpr_dispatch_id 0
		.amdhsa_user_sgpr_flat_scratch_init 0
		.amdhsa_user_sgpr_private_segment_size 0
		.amdhsa_uses_dynamic_stack 0
		.amdhsa_system_sgpr_private_segment_wavefront_offset 0
		.amdhsa_system_sgpr_workgroup_id_x 1
		.amdhsa_system_sgpr_workgroup_id_y 0
		.amdhsa_system_sgpr_workgroup_id_z 0
		.amdhsa_system_sgpr_workgroup_info 0
		.amdhsa_system_vgpr_workitem_id 0
		.amdhsa_next_free_vgpr 1
		.amdhsa_next_free_sgpr 0
		.amdhsa_reserve_vcc 0
		.amdhsa_reserve_flat_scratch 0
		.amdhsa_float_round_mode_32 0
		.amdhsa_float_round_mode_16_64 0
		.amdhsa_float_denorm_mode_32 3
		.amdhsa_float_denorm_mode_16_64 3
		.amdhsa_dx10_clamp 1
		.amdhsa_ieee_mode 1
		.amdhsa_fp16_overflow 0
		.amdhsa_exception_fp_ieee_invalid_op 0
		.amdhsa_exception_fp_denorm_src 0
		.amdhsa_exception_fp_ieee_div_zero 0
		.amdhsa_exception_fp_ieee_overflow 0
		.amdhsa_exception_fp_ieee_underflow 0
		.amdhsa_exception_fp_ieee_inexact 0
		.amdhsa_exception_int_div_zero 0
	.end_amdhsa_kernel
	.section	.text._ZN7rocprim17ROCPRIM_400000_NS6detail17trampoline_kernelINS0_14default_configENS1_22reduce_config_selectorI18summary_stats_dataIfEEEZNS1_11reduce_implILb1ES3_N6thrust23THRUST_200600_302600_NS11hip_rocprim26transform_input_iterator_tIS6_NSA_6detail15normal_iteratorINSA_10device_ptrIfEEEE22summary_stats_unary_opIfEEEPS6_S6_23summary_stats_binary_opIfEEE10hipError_tPvRmT1_T2_T3_mT4_P12ihipStream_tbEUlT_E1_NS1_11comp_targetILNS1_3genE3ELNS1_11target_archE908ELNS1_3gpuE7ELNS1_3repE0EEENS1_30default_config_static_selectorELNS0_4arch9wavefront6targetE1EEEvSR_,"axG",@progbits,_ZN7rocprim17ROCPRIM_400000_NS6detail17trampoline_kernelINS0_14default_configENS1_22reduce_config_selectorI18summary_stats_dataIfEEEZNS1_11reduce_implILb1ES3_N6thrust23THRUST_200600_302600_NS11hip_rocprim26transform_input_iterator_tIS6_NSA_6detail15normal_iteratorINSA_10device_ptrIfEEEE22summary_stats_unary_opIfEEEPS6_S6_23summary_stats_binary_opIfEEE10hipError_tPvRmT1_T2_T3_mT4_P12ihipStream_tbEUlT_E1_NS1_11comp_targetILNS1_3genE3ELNS1_11target_archE908ELNS1_3gpuE7ELNS1_3repE0EEENS1_30default_config_static_selectorELNS0_4arch9wavefront6targetE1EEEvSR_,comdat
.Lfunc_end30:
	.size	_ZN7rocprim17ROCPRIM_400000_NS6detail17trampoline_kernelINS0_14default_configENS1_22reduce_config_selectorI18summary_stats_dataIfEEEZNS1_11reduce_implILb1ES3_N6thrust23THRUST_200600_302600_NS11hip_rocprim26transform_input_iterator_tIS6_NSA_6detail15normal_iteratorINSA_10device_ptrIfEEEE22summary_stats_unary_opIfEEEPS6_S6_23summary_stats_binary_opIfEEE10hipError_tPvRmT1_T2_T3_mT4_P12ihipStream_tbEUlT_E1_NS1_11comp_targetILNS1_3genE3ELNS1_11target_archE908ELNS1_3gpuE7ELNS1_3repE0EEENS1_30default_config_static_selectorELNS0_4arch9wavefront6targetE1EEEvSR_, .Lfunc_end30-_ZN7rocprim17ROCPRIM_400000_NS6detail17trampoline_kernelINS0_14default_configENS1_22reduce_config_selectorI18summary_stats_dataIfEEEZNS1_11reduce_implILb1ES3_N6thrust23THRUST_200600_302600_NS11hip_rocprim26transform_input_iterator_tIS6_NSA_6detail15normal_iteratorINSA_10device_ptrIfEEEE22summary_stats_unary_opIfEEEPS6_S6_23summary_stats_binary_opIfEEE10hipError_tPvRmT1_T2_T3_mT4_P12ihipStream_tbEUlT_E1_NS1_11comp_targetILNS1_3genE3ELNS1_11target_archE908ELNS1_3gpuE7ELNS1_3repE0EEENS1_30default_config_static_selectorELNS0_4arch9wavefront6targetE1EEEvSR_
                                        ; -- End function
	.set _ZN7rocprim17ROCPRIM_400000_NS6detail17trampoline_kernelINS0_14default_configENS1_22reduce_config_selectorI18summary_stats_dataIfEEEZNS1_11reduce_implILb1ES3_N6thrust23THRUST_200600_302600_NS11hip_rocprim26transform_input_iterator_tIS6_NSA_6detail15normal_iteratorINSA_10device_ptrIfEEEE22summary_stats_unary_opIfEEEPS6_S6_23summary_stats_binary_opIfEEE10hipError_tPvRmT1_T2_T3_mT4_P12ihipStream_tbEUlT_E1_NS1_11comp_targetILNS1_3genE3ELNS1_11target_archE908ELNS1_3gpuE7ELNS1_3repE0EEENS1_30default_config_static_selectorELNS0_4arch9wavefront6targetE1EEEvSR_.num_vgpr, 0
	.set _ZN7rocprim17ROCPRIM_400000_NS6detail17trampoline_kernelINS0_14default_configENS1_22reduce_config_selectorI18summary_stats_dataIfEEEZNS1_11reduce_implILb1ES3_N6thrust23THRUST_200600_302600_NS11hip_rocprim26transform_input_iterator_tIS6_NSA_6detail15normal_iteratorINSA_10device_ptrIfEEEE22summary_stats_unary_opIfEEEPS6_S6_23summary_stats_binary_opIfEEE10hipError_tPvRmT1_T2_T3_mT4_P12ihipStream_tbEUlT_E1_NS1_11comp_targetILNS1_3genE3ELNS1_11target_archE908ELNS1_3gpuE7ELNS1_3repE0EEENS1_30default_config_static_selectorELNS0_4arch9wavefront6targetE1EEEvSR_.num_agpr, 0
	.set _ZN7rocprim17ROCPRIM_400000_NS6detail17trampoline_kernelINS0_14default_configENS1_22reduce_config_selectorI18summary_stats_dataIfEEEZNS1_11reduce_implILb1ES3_N6thrust23THRUST_200600_302600_NS11hip_rocprim26transform_input_iterator_tIS6_NSA_6detail15normal_iteratorINSA_10device_ptrIfEEEE22summary_stats_unary_opIfEEEPS6_S6_23summary_stats_binary_opIfEEE10hipError_tPvRmT1_T2_T3_mT4_P12ihipStream_tbEUlT_E1_NS1_11comp_targetILNS1_3genE3ELNS1_11target_archE908ELNS1_3gpuE7ELNS1_3repE0EEENS1_30default_config_static_selectorELNS0_4arch9wavefront6targetE1EEEvSR_.numbered_sgpr, 0
	.set _ZN7rocprim17ROCPRIM_400000_NS6detail17trampoline_kernelINS0_14default_configENS1_22reduce_config_selectorI18summary_stats_dataIfEEEZNS1_11reduce_implILb1ES3_N6thrust23THRUST_200600_302600_NS11hip_rocprim26transform_input_iterator_tIS6_NSA_6detail15normal_iteratorINSA_10device_ptrIfEEEE22summary_stats_unary_opIfEEEPS6_S6_23summary_stats_binary_opIfEEE10hipError_tPvRmT1_T2_T3_mT4_P12ihipStream_tbEUlT_E1_NS1_11comp_targetILNS1_3genE3ELNS1_11target_archE908ELNS1_3gpuE7ELNS1_3repE0EEENS1_30default_config_static_selectorELNS0_4arch9wavefront6targetE1EEEvSR_.num_named_barrier, 0
	.set _ZN7rocprim17ROCPRIM_400000_NS6detail17trampoline_kernelINS0_14default_configENS1_22reduce_config_selectorI18summary_stats_dataIfEEEZNS1_11reduce_implILb1ES3_N6thrust23THRUST_200600_302600_NS11hip_rocprim26transform_input_iterator_tIS6_NSA_6detail15normal_iteratorINSA_10device_ptrIfEEEE22summary_stats_unary_opIfEEEPS6_S6_23summary_stats_binary_opIfEEE10hipError_tPvRmT1_T2_T3_mT4_P12ihipStream_tbEUlT_E1_NS1_11comp_targetILNS1_3genE3ELNS1_11target_archE908ELNS1_3gpuE7ELNS1_3repE0EEENS1_30default_config_static_selectorELNS0_4arch9wavefront6targetE1EEEvSR_.private_seg_size, 0
	.set _ZN7rocprim17ROCPRIM_400000_NS6detail17trampoline_kernelINS0_14default_configENS1_22reduce_config_selectorI18summary_stats_dataIfEEEZNS1_11reduce_implILb1ES3_N6thrust23THRUST_200600_302600_NS11hip_rocprim26transform_input_iterator_tIS6_NSA_6detail15normal_iteratorINSA_10device_ptrIfEEEE22summary_stats_unary_opIfEEEPS6_S6_23summary_stats_binary_opIfEEE10hipError_tPvRmT1_T2_T3_mT4_P12ihipStream_tbEUlT_E1_NS1_11comp_targetILNS1_3genE3ELNS1_11target_archE908ELNS1_3gpuE7ELNS1_3repE0EEENS1_30default_config_static_selectorELNS0_4arch9wavefront6targetE1EEEvSR_.uses_vcc, 0
	.set _ZN7rocprim17ROCPRIM_400000_NS6detail17trampoline_kernelINS0_14default_configENS1_22reduce_config_selectorI18summary_stats_dataIfEEEZNS1_11reduce_implILb1ES3_N6thrust23THRUST_200600_302600_NS11hip_rocprim26transform_input_iterator_tIS6_NSA_6detail15normal_iteratorINSA_10device_ptrIfEEEE22summary_stats_unary_opIfEEEPS6_S6_23summary_stats_binary_opIfEEE10hipError_tPvRmT1_T2_T3_mT4_P12ihipStream_tbEUlT_E1_NS1_11comp_targetILNS1_3genE3ELNS1_11target_archE908ELNS1_3gpuE7ELNS1_3repE0EEENS1_30default_config_static_selectorELNS0_4arch9wavefront6targetE1EEEvSR_.uses_flat_scratch, 0
	.set _ZN7rocprim17ROCPRIM_400000_NS6detail17trampoline_kernelINS0_14default_configENS1_22reduce_config_selectorI18summary_stats_dataIfEEEZNS1_11reduce_implILb1ES3_N6thrust23THRUST_200600_302600_NS11hip_rocprim26transform_input_iterator_tIS6_NSA_6detail15normal_iteratorINSA_10device_ptrIfEEEE22summary_stats_unary_opIfEEEPS6_S6_23summary_stats_binary_opIfEEE10hipError_tPvRmT1_T2_T3_mT4_P12ihipStream_tbEUlT_E1_NS1_11comp_targetILNS1_3genE3ELNS1_11target_archE908ELNS1_3gpuE7ELNS1_3repE0EEENS1_30default_config_static_selectorELNS0_4arch9wavefront6targetE1EEEvSR_.has_dyn_sized_stack, 0
	.set _ZN7rocprim17ROCPRIM_400000_NS6detail17trampoline_kernelINS0_14default_configENS1_22reduce_config_selectorI18summary_stats_dataIfEEEZNS1_11reduce_implILb1ES3_N6thrust23THRUST_200600_302600_NS11hip_rocprim26transform_input_iterator_tIS6_NSA_6detail15normal_iteratorINSA_10device_ptrIfEEEE22summary_stats_unary_opIfEEEPS6_S6_23summary_stats_binary_opIfEEE10hipError_tPvRmT1_T2_T3_mT4_P12ihipStream_tbEUlT_E1_NS1_11comp_targetILNS1_3genE3ELNS1_11target_archE908ELNS1_3gpuE7ELNS1_3repE0EEENS1_30default_config_static_selectorELNS0_4arch9wavefront6targetE1EEEvSR_.has_recursion, 0
	.set _ZN7rocprim17ROCPRIM_400000_NS6detail17trampoline_kernelINS0_14default_configENS1_22reduce_config_selectorI18summary_stats_dataIfEEEZNS1_11reduce_implILb1ES3_N6thrust23THRUST_200600_302600_NS11hip_rocprim26transform_input_iterator_tIS6_NSA_6detail15normal_iteratorINSA_10device_ptrIfEEEE22summary_stats_unary_opIfEEEPS6_S6_23summary_stats_binary_opIfEEE10hipError_tPvRmT1_T2_T3_mT4_P12ihipStream_tbEUlT_E1_NS1_11comp_targetILNS1_3genE3ELNS1_11target_archE908ELNS1_3gpuE7ELNS1_3repE0EEENS1_30default_config_static_selectorELNS0_4arch9wavefront6targetE1EEEvSR_.has_indirect_call, 0
	.section	.AMDGPU.csdata,"",@progbits
; Kernel info:
; codeLenInByte = 0
; TotalNumSgprs: 4
; NumVgprs: 0
; ScratchSize: 0
; MemoryBound: 0
; FloatMode: 240
; IeeeMode: 1
; LDSByteSize: 0 bytes/workgroup (compile time only)
; SGPRBlocks: 0
; VGPRBlocks: 0
; NumSGPRsForWavesPerEU: 4
; NumVGPRsForWavesPerEU: 1
; Occupancy: 10
; WaveLimiterHint : 0
; COMPUTE_PGM_RSRC2:SCRATCH_EN: 0
; COMPUTE_PGM_RSRC2:USER_SGPR: 6
; COMPUTE_PGM_RSRC2:TRAP_HANDLER: 0
; COMPUTE_PGM_RSRC2:TGID_X_EN: 1
; COMPUTE_PGM_RSRC2:TGID_Y_EN: 0
; COMPUTE_PGM_RSRC2:TGID_Z_EN: 0
; COMPUTE_PGM_RSRC2:TIDIG_COMP_CNT: 0
	.section	.text._ZN7rocprim17ROCPRIM_400000_NS6detail17trampoline_kernelINS0_14default_configENS1_22reduce_config_selectorI18summary_stats_dataIfEEEZNS1_11reduce_implILb1ES3_N6thrust23THRUST_200600_302600_NS11hip_rocprim26transform_input_iterator_tIS6_NSA_6detail15normal_iteratorINSA_10device_ptrIfEEEE22summary_stats_unary_opIfEEEPS6_S6_23summary_stats_binary_opIfEEE10hipError_tPvRmT1_T2_T3_mT4_P12ihipStream_tbEUlT_E1_NS1_11comp_targetILNS1_3genE2ELNS1_11target_archE906ELNS1_3gpuE6ELNS1_3repE0EEENS1_30default_config_static_selectorELNS0_4arch9wavefront6targetE1EEEvSR_,"axG",@progbits,_ZN7rocprim17ROCPRIM_400000_NS6detail17trampoline_kernelINS0_14default_configENS1_22reduce_config_selectorI18summary_stats_dataIfEEEZNS1_11reduce_implILb1ES3_N6thrust23THRUST_200600_302600_NS11hip_rocprim26transform_input_iterator_tIS6_NSA_6detail15normal_iteratorINSA_10device_ptrIfEEEE22summary_stats_unary_opIfEEEPS6_S6_23summary_stats_binary_opIfEEE10hipError_tPvRmT1_T2_T3_mT4_P12ihipStream_tbEUlT_E1_NS1_11comp_targetILNS1_3genE2ELNS1_11target_archE906ELNS1_3gpuE6ELNS1_3repE0EEENS1_30default_config_static_selectorELNS0_4arch9wavefront6targetE1EEEvSR_,comdat
	.protected	_ZN7rocprim17ROCPRIM_400000_NS6detail17trampoline_kernelINS0_14default_configENS1_22reduce_config_selectorI18summary_stats_dataIfEEEZNS1_11reduce_implILb1ES3_N6thrust23THRUST_200600_302600_NS11hip_rocprim26transform_input_iterator_tIS6_NSA_6detail15normal_iteratorINSA_10device_ptrIfEEEE22summary_stats_unary_opIfEEEPS6_S6_23summary_stats_binary_opIfEEE10hipError_tPvRmT1_T2_T3_mT4_P12ihipStream_tbEUlT_E1_NS1_11comp_targetILNS1_3genE2ELNS1_11target_archE906ELNS1_3gpuE6ELNS1_3repE0EEENS1_30default_config_static_selectorELNS0_4arch9wavefront6targetE1EEEvSR_ ; -- Begin function _ZN7rocprim17ROCPRIM_400000_NS6detail17trampoline_kernelINS0_14default_configENS1_22reduce_config_selectorI18summary_stats_dataIfEEEZNS1_11reduce_implILb1ES3_N6thrust23THRUST_200600_302600_NS11hip_rocprim26transform_input_iterator_tIS6_NSA_6detail15normal_iteratorINSA_10device_ptrIfEEEE22summary_stats_unary_opIfEEEPS6_S6_23summary_stats_binary_opIfEEE10hipError_tPvRmT1_T2_T3_mT4_P12ihipStream_tbEUlT_E1_NS1_11comp_targetILNS1_3genE2ELNS1_11target_archE906ELNS1_3gpuE6ELNS1_3repE0EEENS1_30default_config_static_selectorELNS0_4arch9wavefront6targetE1EEEvSR_
	.globl	_ZN7rocprim17ROCPRIM_400000_NS6detail17trampoline_kernelINS0_14default_configENS1_22reduce_config_selectorI18summary_stats_dataIfEEEZNS1_11reduce_implILb1ES3_N6thrust23THRUST_200600_302600_NS11hip_rocprim26transform_input_iterator_tIS6_NSA_6detail15normal_iteratorINSA_10device_ptrIfEEEE22summary_stats_unary_opIfEEEPS6_S6_23summary_stats_binary_opIfEEE10hipError_tPvRmT1_T2_T3_mT4_P12ihipStream_tbEUlT_E1_NS1_11comp_targetILNS1_3genE2ELNS1_11target_archE906ELNS1_3gpuE6ELNS1_3repE0EEENS1_30default_config_static_selectorELNS0_4arch9wavefront6targetE1EEEvSR_
	.p2align	8
	.type	_ZN7rocprim17ROCPRIM_400000_NS6detail17trampoline_kernelINS0_14default_configENS1_22reduce_config_selectorI18summary_stats_dataIfEEEZNS1_11reduce_implILb1ES3_N6thrust23THRUST_200600_302600_NS11hip_rocprim26transform_input_iterator_tIS6_NSA_6detail15normal_iteratorINSA_10device_ptrIfEEEE22summary_stats_unary_opIfEEEPS6_S6_23summary_stats_binary_opIfEEE10hipError_tPvRmT1_T2_T3_mT4_P12ihipStream_tbEUlT_E1_NS1_11comp_targetILNS1_3genE2ELNS1_11target_archE906ELNS1_3gpuE6ELNS1_3repE0EEENS1_30default_config_static_selectorELNS0_4arch9wavefront6targetE1EEEvSR_,@function
_ZN7rocprim17ROCPRIM_400000_NS6detail17trampoline_kernelINS0_14default_configENS1_22reduce_config_selectorI18summary_stats_dataIfEEEZNS1_11reduce_implILb1ES3_N6thrust23THRUST_200600_302600_NS11hip_rocprim26transform_input_iterator_tIS6_NSA_6detail15normal_iteratorINSA_10device_ptrIfEEEE22summary_stats_unary_opIfEEEPS6_S6_23summary_stats_binary_opIfEEE10hipError_tPvRmT1_T2_T3_mT4_P12ihipStream_tbEUlT_E1_NS1_11comp_targetILNS1_3genE2ELNS1_11target_archE906ELNS1_3gpuE6ELNS1_3repE0EEENS1_30default_config_static_selectorELNS0_4arch9wavefront6targetE1EEEvSR_: ; @_ZN7rocprim17ROCPRIM_400000_NS6detail17trampoline_kernelINS0_14default_configENS1_22reduce_config_selectorI18summary_stats_dataIfEEEZNS1_11reduce_implILb1ES3_N6thrust23THRUST_200600_302600_NS11hip_rocprim26transform_input_iterator_tIS6_NSA_6detail15normal_iteratorINSA_10device_ptrIfEEEE22summary_stats_unary_opIfEEEPS6_S6_23summary_stats_binary_opIfEEE10hipError_tPvRmT1_T2_T3_mT4_P12ihipStream_tbEUlT_E1_NS1_11comp_targetILNS1_3genE2ELNS1_11target_archE906ELNS1_3gpuE6ELNS1_3repE0EEENS1_30default_config_static_selectorELNS0_4arch9wavefront6targetE1EEEvSR_
; %bb.0:
	s_load_dword s33, s[4:5], 0x4
	s_load_dwordx2 s[14:15], s[4:5], 0x8
	s_load_dwordx8 s[16:23], s[4:5], 0x18
	s_load_dwordx4 s[24:27], s[4:5], 0x38
	s_waitcnt lgkmcnt(0)
	s_cmp_lt_i32 s33, 2
	s_cbranch_scc1 .LBB31_9
; %bb.1:
	s_cmp_gt_i32 s33, 3
	s_cbranch_scc0 .LBB31_10
; %bb.2:
	s_cmp_eq_u32 s33, 4
	s_mov_b64 s[12:13], 0
	s_cbranch_scc0 .LBB31_11
; %bb.3:
	s_mov_b32 s7, 0
	s_lshl_b32 s30, s6, 10
	s_mov_b32 s31, s7
	s_lshr_b64 s[0:1], s[16:17], 10
	s_lshl_b64 s[2:3], s[30:31], 2
	s_add_u32 s28, s14, s2
	s_addc_u32 s29, s15, s3
	s_cmp_lg_u64 s[0:1], s[6:7]
	s_cbranch_scc0 .LBB31_20
; %bb.4:
	v_lshlrev_b32_e32 v1, 2, v0
	global_load_dword v2, v1, s[28:29]
	global_load_dword v3, v1, s[28:29] offset:1024
	global_load_dword v4, v1, s[28:29] offset:2048
	s_mov_b32 s27, 0x40400000
	global_load_dword v1, v1, s[28:29] offset:3072
	s_mov_b32 s3, 0x3e000000
	s_mov_b32 s2, 0x3e800000
	;; [unrolled: 1-line block ×4, first 2 shown]
	s_waitcnt vmcnt(2)
	v_cmp_lt_f32_e32 vcc, v3, v2
	v_sub_f32_e32 v5, v3, v2
	v_cndmask_b32_e32 v6, v2, v3, vcc
	v_cmp_lt_f32_e32 vcc, v2, v3
	v_cndmask_b32_e32 v3, v2, v3, vcc
	v_mul_f32_e32 v7, v5, v5
	v_fmac_f32_e32 v2, 0.5, v5
	v_mul_f32_e32 v10, v5, v7
	s_waitcnt vmcnt(1)
	v_sub_f32_e32 v13, v4, v2
	v_mul_f32_e32 v8, 0x40400000, v5
	v_mul_f32_e32 v9, 4.0, v5
	v_mul_f32_e32 v12, 0x40c00000, v7
	v_mul_f32_e32 v5, v5, v10
	;; [unrolled: 1-line block ×3, first 2 shown]
	v_fma_f32 v14, v7, -0.5, 0
	v_mul_f32_e32 v12, 0, v12
	v_div_scale_f32 v16, s[0:1], s27, s27, v13
	v_mul_f32_e32 v18, 0x40400000, v13
	v_fma_f32 v5, v5, s3, 0
	v_add_f32_e32 v21, v15, v15
	v_mul_f32_e32 v10, 0, v10
	v_mul_f32_e32 v14, v14, v18
	v_fmac_f32_e32 v5, 0x3e800000, v12
	v_div_scale_f32 v12, s[0:1], s27, s27, v21
	v_mul_f32_e32 v8, 0, v8
	v_fma_f32 v10, v10, s2, 0
	v_mul_f32_e32 v20, v13, v15
	v_div_scale_f32 v22, s[2:3], s27, s27, v14
	v_mul_f32_e32 v9, 0, v9
	v_fmac_f32_e32 v10, 0.5, v8
	v_mul_f32_e32 v8, v13, v20
	v_add_f32_e32 v20, v20, v20
	v_fmac_f32_e32 v5, 0.5, v9
	v_div_scale_f32 v9, s[4:5], s31, s31, v20
	v_div_scale_f32 v17, vcc, v13, s27, v13
	v_add_f32_e32 v8, v8, v8
	v_mul_f32_e32 v8, 0x40400000, v8
	v_div_scale_f32 v24, s[8:9], s34, s34, v8
	v_div_scale_f32 v18, s[0:1], v21, s27, v21
	;; [unrolled: 1-line block ×3, first 2 shown]
	v_mul_f32_e32 v11, 0.5, v7
	v_mul_f32_e32 v15, 0x40c00000, v15
	v_mul_f32_e32 v19, 4.0, v13
	v_mul_f32_e32 v11, v11, v15
	v_div_scale_f32 v15, s[4:5], v20, s31, v20
	v_mul_f32_e64 v19, v19, -v10
	v_div_scale_f32 v27, s[10:11], s27, s27, v19
	v_div_scale_f32 v28, s[10:11], v8, s34, v8
	v_rcp_f32_e32 v29, v16
	v_rcp_f32_e32 v30, v12
	;; [unrolled: 1-line block ×3, first 2 shown]
	v_div_scale_f32 v25, s[8:9], s31, s31, v11
	v_rcp_f32_e32 v32, v9
	v_fma_f32 v33, -v16, v29, 1.0
	v_fmac_f32_e32 v29, v33, v29
	v_fma_f32 v35, -v12, v30, 1.0
	v_mul_f32_e32 v34, v17, v29
	v_fmac_f32_e32 v30, v35, v30
	v_fma_f32 v35, -v22, v31, 1.0
	v_fmac_f32_e32 v31, v35, v31
	v_fma_f32 v35, -v16, v34, v17
	v_rcp_f32_e32 v33, v24
	v_fmac_f32_e32 v34, v35, v29
	v_fma_f32 v35, -v9, v32, 1.0
	v_div_scale_f32 v26, s[8:9], v11, s31, v11
	v_fmac_f32_e32 v32, v35, v32
	v_mul_f32_e32 v35, v18, v30
	v_fma_f32 v16, -v16, v34, v17
	v_mul_f32_e32 v17, v23, v31
	v_div_fmas_f32 v16, v16, v29, v34
	v_fma_f32 v29, -v12, v35, v18
	v_fmac_f32_e32 v35, v29, v30
	v_fma_f32 v29, -v22, v17, v23
	v_mul_f32_e32 v34, v15, v32
	v_fmac_f32_e32 v17, v29, v31
	v_fma_f32 v29, -v24, v33, 1.0
	v_fmac_f32_e32 v33, v29, v33
	v_fma_f32 v29, -v9, v34, v15
	v_fma_f32 v12, -v12, v35, v18
	v_fmac_f32_e32 v34, v29, v32
	s_mov_b64 vcc, s[0:1]
	v_fma_f32 v18, -v22, v17, v23
	v_mul_f32_e32 v22, v28, v33
	v_div_fmas_f32 v12, v12, v30, v35
	v_fma_f32 v9, -v9, v34, v15
	s_mov_b64 vcc, s[4:5]
	v_fma_f32 v15, -v24, v22, v28
	v_div_fmas_f32 v9, v9, v32, v34
	s_mov_b64 vcc, s[2:3]
	v_fmac_f32_e32 v22, v15, v33
	v_div_fmas_f32 v15, v18, v31, v17
	v_div_scale_f32 v17, s[0:1], v19, s27, v19
	v_rcp_f32_e32 v18, v25
	v_fma_f32 v23, -v24, v22, v28
	s_mov_b64 vcc, s[10:11]
	v_div_fmas_f32 v22, v23, v33, v22
	v_fma_f32 v23, -v25, v18, 1.0
	v_fmac_f32_e32 v18, v23, v18
	v_mul_f32_e32 v23, v26, v18
	v_fma_f32 v24, -v25, v23, v26
	v_fmac_f32_e32 v23, v24, v18
	v_rcp_f32_e32 v24, v27
	v_fma_f32 v25, -v25, v23, v26
	s_mov_b64 vcc, s[8:9]
	v_div_fmas_f32 v18, v25, v18, v23
	v_fma_f32 v23, -v27, v24, 1.0
	v_fmac_f32_e32 v24, v23, v24
	v_mul_f32_e32 v23, v17, v24
	v_fma_f32 v25, -v27, v23, v17
	v_fmac_f32_e32 v23, v25, v24
	v_fma_f32 v17, -v27, v23, v17
	s_mov_b64 vcc, s[0:1]
	v_div_fmas_f32 v17, v17, v24, v23
	v_cmp_lt_f32_e32 vcc, v4, v6
	v_cndmask_b32_e32 v6, v6, v4, vcc
	v_cmp_lt_f32_e32 vcc, v3, v4
	v_cndmask_b32_e32 v3, v3, v4, vcc
	v_div_fixup_f32 v4, v16, s27, v13
	v_div_fixup_f32 v8, v22, s34, v8
	v_add_f32_e32 v2, v2, v4
	v_div_fixup_f32 v4, v12, s27, v21
	v_add_f32_e32 v5, v5, v8
	v_div_fixup_f32 v8, v18, s31, v11
	v_fmac_f32_e32 v4, 0.5, v7
	v_div_fixup_f32 v7, v9, s31, v20
	v_add_f32_e32 v5, v8, v5
	v_add_f32_e32 v7, v10, v7
	v_div_fixup_f32 v9, v15, s27, v14
	v_div_fixup_f32 v8, v17, s27, v19
	v_add_f32_e32 v5, v8, v5
	s_waitcnt vmcnt(0)
	v_sub_f32_e32 v8, v1, v2
	v_cmp_lt_f32_e32 vcc, v1, v6
	v_add_f32_e32 v7, v9, v7
	v_mul_f32_e32 v9, v8, v8
	v_cndmask_b32_e32 v6, v6, v1, vcc
	v_cmp_lt_f32_e32 vcc, v3, v1
	v_mul_f32_e32 v10, v8, v9
	v_cndmask_b32_e32 v3, v3, v1, vcc
	v_mul_f32_e32 v1, 0x40400000, v9
	v_mov_b32_e32 v12, v4
	v_fmac_f32_e32 v12, 0x3e800000, v1
	v_mul_f32_e32 v1, 0x40400000, v10
	v_mul_f32_e32 v11, v8, v10
	v_add_f32_e32 v1, v1, v1
	v_mov_b32_e32 v10, v7
	v_fmac_f32_e32 v10, 0x3d800000, v1
	v_mul_f32_e32 v1, 0x40400000, v8
	v_mul_f32_e64 v1, v1, -v4
	v_fmac_f32_e32 v10, 0x3e800000, v1
	v_mul_f32_e32 v1, 0x40400000, v11
	v_fmac_f32_e32 v2, 0x3e800000, v8
	v_mul_f32_e32 v1, 0x40e00000, v1
	;; [unrolled: 2-line block ×3, first 2 shown]
	v_mov_b32_e32 v9, 4.0
	v_mov_b32_dpp v11, v2 quad_perm:[1,0,3,2] row_mask:0xf bank_mask:0xf bound_ctrl:1
	v_sub_f32_e32 v2, v2, v11
	v_mov_b32_dpp v9, v9 quad_perm:[1,0,3,2] row_mask:0xf bank_mask:0xf bound_ctrl:1
	v_add_f32_e32 v13, 4.0, v9
	v_mul_f32_e32 v14, 4.0, v2
	v_div_scale_f32 v15, s[0:1], v13, v13, v14
	v_mul_f32_e32 v1, v4, v1
	v_mul_f32_e32 v4, v2, v2
	v_fmac_f32_e32 v5, 0x3d800000, v1
	v_div_scale_f32 v16, vcc, v14, v13, v14
	v_mul_f32_e32 v1, v4, v9
	v_mul_f32_e32 v17, 4.0, v1
	v_div_scale_f32 v18, s[0:1], v13, v13, v17
	v_mul_f32_e32 v1, 4.0, v8
	v_mul_f32_e64 v1, v1, -v7
	v_div_scale_f32 v7, s[0:1], v17, v13, v17
	v_mul_f32_e32 v20, v2, v4
	v_rcp_f32_e32 v8, v15
	v_mul_f32_e32 v19, v13, v13
	v_mul_f32_e32 v27, v9, v9
	v_fma_f32 v28, -4.0, v9, v27
	v_fma_f32 v21, -v15, v8, 1.0
	v_fmac_f32_e32 v8, v21, v8
	v_mul_f32_e32 v21, v16, v8
	v_fma_f32 v22, -v15, v21, v16
	v_fmac_f32_e32 v21, v22, v8
	v_rcp_f32_e32 v22, v18
	v_fma_f32 v15, -v15, v21, v16
	v_div_fmas_f32 v8, v15, v8, v21
	s_mov_b64 vcc, s[0:1]
	v_fma_f32 v15, -v18, v22, 1.0
	v_fmac_f32_e32 v22, v15, v22
	v_mul_f32_e32 v15, v7, v22
	v_fma_f32 v16, -v18, v15, v7
	v_fmac_f32_e32 v15, v16, v22
	v_fma_f32 v7, -v18, v15, v7
	v_div_fmas_f32 v7, v7, v22, v15
	v_mul_f32_e32 v16, v20, v9
	v_mul_f32_e32 v16, 4.0, v16
	v_add_f32_e32 v18, -4.0, v9
	v_mul_f32_e32 v16, v18, v16
	v_div_scale_f32 v18, s[2:3], v19, v19, v16
	v_mov_b32_dpp v15, v6 quad_perm:[1,0,3,2] row_mask:0xf bank_mask:0xf bound_ctrl:1
	v_mov_b32_dpp v21, v3 quad_perm:[1,0,3,2] row_mask:0xf bank_mask:0xf bound_ctrl:1
	v_cmp_lt_f32_e32 vcc, v6, v15
	v_cndmask_b32_e32 v6, v15, v6, vcc
	v_cmp_gt_f32_e32 vcc, v3, v21
	v_mov_b32_dpp v22, v12 quad_perm:[1,0,3,2] row_mask:0xf bank_mask:0xf bound_ctrl:1
	v_cndmask_b32_e32 v3, v21, v3, vcc
	v_mul_f32_e32 v21, -4.0, v22
	v_mul_f32_e32 v20, v2, v20
	v_div_fixup_f32 v7, v7, v13, v17
	v_div_scale_f32 v17, vcc, v16, v19, v16
	v_mul_f32_e32 v2, 0x40400000, v2
	v_fmac_f32_e32 v21, v12, v9
	v_mul_f32_e32 v2, v2, v21
	v_div_scale_f32 v21, s[0:1], v13, v13, v2
	v_div_fixup_f32 v8, v8, v13, v14
	v_mul_f32_e32 v20, v20, v9
	v_add_f32_e32 v8, v8, v11
	v_rcp_f32_e32 v11, v18
	v_div_scale_f32 v26, s[0:1], v2, v13, v2
	v_mul_f32_e32 v20, 4.0, v20
	v_add_f32_e32 v28, 0x41800000, v28
	v_mul_f32_e32 v25, v13, v19
	v_mul_f32_e32 v20, v28, v20
	v_div_scale_f32 v28, s[2:3], v25, v25, v20
	v_add_f32_e32 v15, v12, v22
	v_add_f32_e32 v7, v15, v7
	v_fma_f32 v15, -v18, v11, 1.0
	v_fmac_f32_e32 v11, v15, v11
	v_mul_f32_e32 v15, v17, v11
	v_fma_f32 v29, -v18, v15, v17
	v_fmac_f32_e32 v15, v29, v11
	v_div_scale_f32 v29, s[2:3], v20, v25, v20
	v_rcp_f32_e32 v30, v21
	v_fma_f32 v17, -v18, v15, v17
	v_div_fmas_f32 v11, v17, v11, v15
	v_mul_f32_e32 v12, v27, v12
	v_fma_f32 v15, -v21, v30, 1.0
	v_fmac_f32_e32 v30, v15, v30
	v_mul_f32_e32 v15, v26, v30
	v_fma_f32 v17, -v21, v15, v26
	v_fmac_f32_e32 v15, v17, v30
	v_rcp_f32_e32 v17, v28
	v_fma_f32 v18, -v21, v15, v26
	s_mov_b64 vcc, s[0:1]
	v_mul_f32_e32 v4, 0x40c00000, v4
	v_fmac_f32_e32 v12, 0x41800000, v22
	v_div_fmas_f32 v15, v18, v30, v15
	v_fma_f32 v18, -v28, v17, 1.0
	v_mul_f32_e32 v4, v4, v12
	v_fmac_f32_e32 v17, v18, v17
	v_div_scale_f32 v12, s[0:1], v19, v19, v4
	v_mul_f32_e32 v18, v29, v17
	v_fma_f32 v21, -v28, v18, v29
	v_fmac_f32_e32 v18, v21, v17
	v_mov_b32_dpp v23, v10 quad_perm:[1,0,3,2] row_mask:0xf bank_mask:0xf bound_ctrl:1
	v_fma_f32 v21, -v28, v18, v29
	s_mov_b64 vcc, s[2:3]
	v_div_fmas_f32 v17, v21, v17, v18
	v_mul_f32_e32 v21, -4.0, v23
	v_div_scale_f32 v18, vcc, v4, v19, v4
	v_fmac_f32_e32 v21, v10, v9
	v_mul_f32_e32 v9, v14, v21
	v_div_scale_f32 v14, s[0:1], v13, v13, v9
	v_add_f32_e32 v10, v10, v23
	v_div_fixup_f32 v11, v11, v19, v16
	v_add_f32_e32 v10, v10, v11
	v_div_scale_f32 v11, s[0:1], v9, v13, v9
	v_div_fixup_f32 v2, v15, v13, v2
	v_rcp_f32_e32 v15, v12
	v_add_f32_e32 v2, v2, v10
	v_div_fixup_f32 v10, v17, v25, v20
	v_fmac_f32_e32 v5, 0x3e800000, v1
	v_fma_f32 v16, -v12, v15, 1.0
	v_fmac_f32_e32 v15, v16, v15
	v_mul_f32_e32 v16, v18, v15
	v_fma_f32 v17, -v12, v16, v18
	v_fmac_f32_e32 v16, v17, v15
	v_rcp_f32_e32 v17, v14
	v_fma_f32 v12, -v12, v16, v18
	v_div_fmas_f32 v12, v12, v15, v16
	s_mov_b64 vcc, s[0:1]
	v_fma_f32 v15, -v14, v17, 1.0
	v_fmac_f32_e32 v17, v15, v17
	v_mul_f32_e32 v15, v11, v17
	v_fma_f32 v16, -v14, v15, v11
	v_fmac_f32_e32 v15, v16, v17
	v_fma_f32 v11, -v14, v15, v11
	v_div_fmas_f32 v11, v11, v17, v15
	v_mov_b32_dpp v15, v8 quad_perm:[2,3,0,1] row_mask:0xf bank_mask:0xf bound_ctrl:1
	v_mov_b32_dpp v14, v13 quad_perm:[2,3,0,1] row_mask:0xf bank_mask:0xf bound_ctrl:1
	v_sub_f32_e32 v8, v8, v15
	v_add_f32_e32 v16, v13, v14
	v_mul_f32_e32 v17, v13, v8
	v_div_scale_f32 v18, s[0:1], v16, v16, v17
	v_mov_b32_dpp v24, v5 quad_perm:[1,0,3,2] row_mask:0xf bank_mask:0xf bound_ctrl:1
	v_add_f32_e32 v5, v5, v24
	v_add_f32_e32 v5, v5, v10
	v_mul_f32_e32 v10, v8, v8
	v_div_fixup_f32 v4, v12, v19, v4
	v_div_scale_f32 v12, vcc, v17, v16, v17
	v_mul_f32_e32 v20, v10, v14
	v_mul_f32_e32 v20, v13, v20
	v_div_scale_f32 v21, s[0:1], v16, v16, v20
	v_add_f32_e32 v4, v4, v5
	v_div_fixup_f32 v5, v11, v13, v9
	v_div_scale_f32 v9, s[0:1], v20, v16, v20
	v_rcp_f32_e32 v11, v18
	v_mul_f32_e32 v24, v8, v10
	v_mul_f32_e32 v23, v16, v16
	v_add_f32_e32 v4, v5, v4
	v_fma_f32 v25, -v18, v11, 1.0
	v_fmac_f32_e32 v11, v25, v11
	v_mul_f32_e32 v25, v12, v11
	v_fma_f32 v26, -v18, v25, v12
	v_fmac_f32_e32 v25, v26, v11
	v_fma_f32 v12, -v18, v25, v12
	v_rcp_f32_e32 v26, v21
	v_div_fmas_f32 v11, v12, v11, v25
	s_mov_b64 vcc, s[0:1]
	v_mov_b32_dpp v5, v6 quad_perm:[2,3,0,1] row_mask:0xf bank_mask:0xf bound_ctrl:1
	v_fma_f32 v12, -v21, v26, 1.0
	v_fmac_f32_e32 v26, v12, v26
	v_mul_f32_e32 v12, v9, v26
	v_fma_f32 v18, -v21, v12, v9
	v_fmac_f32_e32 v12, v18, v26
	v_fma_f32 v9, -v21, v12, v9
	v_div_fmas_f32 v9, v9, v26, v12
	v_mul_f32_e32 v12, v24, v14
	v_mul_f32_e32 v12, v13, v12
	v_sub_f32_e32 v18, v14, v13
	v_mul_f32_e32 v12, v18, v12
	v_div_scale_f32 v18, s[0:1], v23, v23, v12
	v_mov_b32_dpp v22, v3 quad_perm:[2,3,0,1] row_mask:0xf bank_mask:0xf bound_ctrl:1
	v_cmp_lt_f32_e32 vcc, v6, v5
	v_mov_b32_dpp v21, v7 quad_perm:[2,3,0,1] row_mask:0xf bank_mask:0xf bound_ctrl:1
	v_cndmask_b32_e32 v5, v5, v6, vcc
	v_cmp_gt_f32_e32 vcc, v3, v22
	v_cndmask_b32_e32 v3, v22, v3, vcc
	v_mul_f32_e32 v22, v13, v21
	v_div_fixup_f32 v6, v11, v16, v17
	v_div_scale_f32 v17, vcc, v12, v23, v12
	v_div_fixup_f32 v9, v9, v16, v20
	v_mul_f32_e32 v20, 0x40400000, v8
	v_fma_f32 v22, v7, v14, -v22
	v_mul_f32_e32 v20, v20, v22
	v_div_scale_f32 v22, s[0:1], v16, v16, v20
	v_div_scale_f32 v28, s[0:1], v20, v16, v20
	v_mul_f32_e32 v24, v8, v24
	v_add_f32_e32 v6, v6, v15
	v_rcp_f32_e32 v15, v18
	v_mul_f32_e32 v29, v14, v14
	v_mul_f32_e32 v24, v24, v14
	v_fma_f32 v30, -v13, v14, v29
	v_mul_f32_e32 v24, v13, v24
	v_fmac_f32_e32 v30, v13, v13
	v_mul_f32_e32 v27, v16, v23
	v_mul_f32_e32 v24, v30, v24
	v_div_scale_f32 v30, s[2:3], v27, v27, v24
	v_fma_f32 v31, -v18, v15, 1.0
	v_fmac_f32_e32 v15, v31, v15
	v_mul_f32_e32 v31, v17, v15
	v_fma_f32 v32, -v18, v31, v17
	v_fmac_f32_e32 v31, v32, v15
	v_rcp_f32_e32 v32, v22
	v_fma_f32 v17, -v18, v31, v17
	v_div_fmas_f32 v15, v17, v15, v31
	v_mul_f32_e32 v19, v19, v21
	v_fma_f32 v17, -v22, v32, 1.0
	v_fmac_f32_e32 v32, v17, v32
	v_mul_f32_e32 v17, v28, v32
	v_fma_f32 v18, -v22, v17, v28
	v_fmac_f32_e32 v17, v18, v32
	v_fma_f32 v18, -v22, v17, v28
	v_div_scale_f32 v28, s[2:3], v24, v27, v24
	v_mul_f32_e32 v10, 0x40c00000, v10
	v_fmac_f32_e32 v19, v29, v7
	v_add_f32_e32 v11, v7, v21
	v_mul_f32_e32 v7, v10, v19
	v_div_scale_f32 v10, s[4:5], v23, v23, v7
	v_rcp_f32_e32 v22, v30
	s_mov_b64 vcc, s[0:1]
	v_div_fmas_f32 v17, v18, v32, v17
	v_mov_b32_dpp v25, v2 quad_perm:[2,3,0,1] row_mask:0xf bank_mask:0xf bound_ctrl:1
	v_fma_f32 v18, -v30, v22, 1.0
	v_fmac_f32_e32 v22, v18, v22
	v_div_scale_f32 v18, s[0:1], v7, v23, v7
	v_mul_f32_e32 v13, v13, v25
	v_add_f32_e32 v9, v11, v9
	v_add_f32_e32 v11, v2, v25
	v_fma_f32 v2, v2, v14, -v13
	v_mul_f32_e32 v13, v28, v22
	v_mul_f32_e32 v8, 4.0, v8
	v_fma_f32 v14, -v30, v13, v28
	v_mul_f32_e32 v2, v8, v2
	v_fmac_f32_e32 v13, v14, v22
	v_rcp_f32_e32 v14, v10
	v_div_scale_f32 v8, s[4:5], v16, v16, v2
	v_fma_f32 v21, -v30, v13, v28
	s_mov_b64 vcc, s[2:3]
	v_div_fmas_f32 v13, v21, v22, v13
	v_fma_f32 v21, -v10, v14, 1.0
	v_fmac_f32_e32 v14, v21, v14
	v_mul_f32_e32 v21, v18, v14
	v_div_scale_f32 v19, s[4:5], v2, v16, v2
	v_fma_f32 v22, -v10, v21, v18
	v_fmac_f32_e32 v21, v22, v14
	v_fma_f32 v10, -v10, v21, v18
	s_mov_b64 vcc, s[0:1]
	v_div_fmas_f32 v10, v10, v14, v21
	v_div_fixup_f32 v12, v15, v23, v12
	v_rcp_f32_e32 v18, v8
	v_mov_b32_dpp v26, v4 quad_perm:[2,3,0,1] row_mask:0xf bank_mask:0xf bound_ctrl:1
	v_add_f32_e32 v11, v11, v12
	v_div_fixup_f32 v12, v17, v16, v20
	v_fma_f32 v14, -v8, v18, 1.0
	v_fmac_f32_e32 v18, v14, v18
	v_add_f32_e32 v11, v12, v11
	v_add_f32_e32 v4, v4, v26
	v_mul_f32_e32 v14, v19, v18
	v_fma_f32 v15, -v8, v14, v19
	v_div_fixup_f32 v12, v13, v27, v24
	v_fmac_f32_e32 v14, v15, v18
	v_add_f32_e32 v4, v4, v12
	v_mov_b32_dpp v12, v6 row_ror:4 row_mask:0xf bank_mask:0xf bound_ctrl:1
	v_fma_f32 v8, -v8, v14, v19
	s_mov_b64 vcc, s[4:5]
	v_div_fixup_f32 v7, v10, v23, v7
	v_mov_b32_dpp v10, v16 row_ror:4 row_mask:0xf bank_mask:0xf bound_ctrl:1
	v_sub_f32_e32 v6, v6, v12
	v_div_fmas_f32 v8, v8, v18, v14
	v_add_f32_e32 v13, v16, v10
	v_mul_f32_e32 v14, v16, v6
	v_div_scale_f32 v15, s[0:1], v13, v13, v14
	v_add_f32_e32 v4, v7, v4
	v_div_scale_f32 v7, vcc, v14, v13, v14
	v_mul_f32_e32 v17, v6, v6
	v_mul_f32_e32 v18, v17, v10
	;; [unrolled: 1-line block ×3, first 2 shown]
	v_div_scale_f32 v19, s[0:1], v13, v13, v18
	v_mul_f32_e32 v26, v6, v17
	v_mul_f32_e32 v27, v6, v26
	;; [unrolled: 1-line block ×5, first 2 shown]
	v_mov_b32_dpp v20, v9 row_ror:4 row_mask:0xf bank_mask:0xf bound_ctrl:1
	v_rcp_f32_e32 v24, v15
	v_mul_f32_e32 v32, v16, v20
	v_mul_f32_e32 v31, 0x40400000, v6
	v_fma_f32 v32, v9, v10, -v32
	v_fma_f32 v28, -v15, v24, 1.0
	v_fmac_f32_e32 v24, v28, v24
	v_mul_f32_e32 v28, v7, v24
	v_fma_f32 v29, -v15, v28, v7
	v_fmac_f32_e32 v28, v29, v24
	v_fma_f32 v7, -v15, v28, v7
	v_div_fmas_f32 v7, v7, v24, v28
	v_div_scale_f32 v24, vcc, v18, v13, v18
	v_sub_f32_e32 v28, v10, v16
	v_mul_f32_e32 v26, v28, v26
	v_div_scale_f32 v28, s[0:1], v22, v22, v26
	v_rcp_f32_e32 v15, v19
	v_div_scale_f32 v30, s[0:1], v26, v22, v26
	v_mul_f32_e32 v31, v31, v32
	v_div_scale_f32 v32, s[2:3], v13, v13, v31
	v_fma_f32 v29, -v19, v15, 1.0
	v_fmac_f32_e32 v15, v29, v15
	v_mul_f32_e32 v27, v27, v10
	v_mul_f32_e32 v27, v16, v27
	;; [unrolled: 1-line block ×3, first 2 shown]
	v_fma_f32 v33, -v19, v29, v24
	v_fmac_f32_e32 v29, v33, v15
	v_div_scale_f32 v33, s[2:3], v31, v13, v31
	v_rcp_f32_e32 v34, v28
	v_fma_f32 v19, -v19, v29, v24
	v_div_fmas_f32 v15, v19, v15, v29
	s_mov_b64 vcc, s[0:1]
	v_fma_f32 v19, -v28, v34, 1.0
	v_fmac_f32_e32 v34, v19, v34
	v_mul_f32_e32 v19, v30, v34
	v_fma_f32 v24, -v28, v19, v30
	v_fmac_f32_e32 v19, v24, v34
	v_rcp_f32_e32 v24, v32
	v_fma_f32 v28, -v28, v19, v30
	v_div_fmas_f32 v19, v28, v34, v19
	s_mov_b64 vcc, s[2:3]
	v_fma_f32 v28, -v32, v24, 1.0
	v_fmac_f32_e32 v24, v28, v24
	v_mul_f32_e32 v28, v33, v24
	v_fma_f32 v29, -v32, v28, v33
	v_fmac_f32_e32 v28, v29, v24
	v_fma_f32 v29, -v32, v28, v33
	v_div_fmas_f32 v24, v29, v24, v28
	v_mul_f32_e32 v28, v10, v10
	v_fma_f32 v29, -v16, v10, v28
	v_fmac_f32_e32 v29, v16, v16
	v_mul_f32_e32 v25, v13, v22
	v_mul_f32_e32 v27, v29, v27
	v_div_scale_f32 v29, s[0:1], v25, v25, v27
	v_div_fixup_f32 v2, v8, v16, v2
	v_add_f32_e32 v2, v2, v4
	v_mov_b32_dpp v4, v5 row_ror:4 row_mask:0xf bank_mask:0xf bound_ctrl:1
	v_mov_b32_dpp v8, v3 row_ror:4 row_mask:0xf bank_mask:0xf bound_ctrl:1
	v_cmp_lt_f32_e32 vcc, v5, v4
	v_cndmask_b32_e32 v4, v4, v5, vcc
	v_cmp_gt_f32_e32 vcc, v3, v8
	v_cndmask_b32_e32 v3, v8, v3, vcc
	v_div_fixup_f32 v5, v7, v13, v14
	v_div_scale_f32 v14, vcc, v27, v25, v27
	v_div_fixup_f32 v8, v15, v13, v18
	v_mul_f32_e32 v15, 0x40c00000, v17
	v_mul_f32_e32 v17, v23, v20
	v_fmac_f32_e32 v17, v28, v9
	v_add_f32_e32 v7, v9, v20
	v_mul_f32_e32 v9, v15, v17
	v_div_scale_f32 v15, s[0:1], v22, v22, v9
	v_mov_b32_dpp v21, v11 row_ror:4 row_mask:0xf bank_mask:0xf bound_ctrl:1
	v_add_f32_e32 v5, v5, v12
	v_add_f32_e32 v7, v7, v8
	;; [unrolled: 1-line block ×3, first 2 shown]
	v_div_fixup_f32 v12, v19, v22, v26
	v_add_f32_e32 v8, v8, v12
	v_div_fixup_f32 v12, v24, v13, v31
	v_mul_f32_e32 v16, v16, v21
	v_add_f32_e32 v8, v12, v8
	v_rcp_f32_e32 v12, v29
	v_div_scale_f32 v18, s[0:1], v9, v22, v9
	v_mul_f32_e32 v6, 4.0, v6
	v_fma_f32 v10, v11, v10, -v16
	v_mul_f32_e32 v6, v6, v10
	v_div_scale_f32 v10, s[2:3], v13, v13, v6
	v_fma_f32 v17, -v29, v12, 1.0
	v_fmac_f32_e32 v12, v17, v12
	v_mul_f32_e32 v11, v14, v12
	v_fma_f32 v16, -v29, v11, v14
	v_fmac_f32_e32 v11, v16, v12
	v_div_scale_f32 v16, s[2:3], v6, v13, v6
	v_rcp_f32_e32 v17, v15
	v_fma_f32 v14, -v29, v11, v14
	v_div_fmas_f32 v11, v14, v12, v11
	s_mov_b64 vcc, s[0:1]
	v_fma_f32 v12, -v15, v17, 1.0
	v_fmac_f32_e32 v17, v12, v17
	v_mul_f32_e32 v12, v18, v17
	v_fma_f32 v14, -v15, v12, v18
	v_fmac_f32_e32 v12, v14, v17
	v_rcp_f32_e32 v14, v10
	v_fma_f32 v15, -v15, v12, v18
	v_div_fmas_f32 v12, v15, v17, v12
	s_mov_b64 vcc, s[2:3]
	v_fma_f32 v15, -v10, v14, 1.0
	v_fmac_f32_e32 v14, v15, v14
	v_mul_f32_e32 v15, v16, v14
	v_fma_f32 v17, -v10, v15, v16
	v_fmac_f32_e32 v15, v17, v14
	v_fma_f32 v10, -v10, v15, v16
	v_div_fmas_f32 v10, v10, v14, v15
	v_mov_b32_dpp v15, v5 row_ror:8 row_mask:0xf bank_mask:0xf bound_ctrl:1
	v_mov_b32_dpp v14, v13 row_ror:8 row_mask:0xf bank_mask:0xf bound_ctrl:1
	v_sub_f32_e32 v5, v5, v15
	v_add_f32_e32 v16, v13, v14
	v_mul_f32_e32 v17, v13, v5
	v_div_scale_f32 v18, s[0:1], v16, v16, v17
	v_mul_f32_e32 v19, v5, v5
	v_div_scale_f32 v20, vcc, v17, v16, v17
	v_mul_f32_e32 v21, v19, v14
	v_mul_f32_e32 v21, v13, v21
	v_div_scale_f32 v23, s[0:1], v16, v16, v21
	v_mov_b32_dpp v30, v2 row_ror:4 row_mask:0xf bank_mask:0xf bound_ctrl:1
	v_add_f32_e32 v2, v2, v30
	v_div_fixup_f32 v11, v11, v25, v27
	v_add_f32_e32 v2, v2, v11
	v_div_fixup_f32 v9, v12, v22, v9
	v_add_f32_e32 v2, v9, v2
	v_div_scale_f32 v9, s[0:1], v21, v16, v21
	v_div_fixup_f32 v6, v10, v13, v6
	v_rcp_f32_e32 v10, v18
	v_mul_f32_e32 v11, v5, v19
	v_add_f32_e32 v2, v6, v2
	v_mul_f32_e32 v6, v16, v16
	v_fma_f32 v12, -v18, v10, 1.0
	v_fmac_f32_e32 v10, v12, v10
	v_mul_f32_e32 v12, v20, v10
	v_fma_f32 v24, -v18, v12, v20
	v_fmac_f32_e32 v12, v24, v10
	v_rcp_f32_e32 v24, v23
	v_fma_f32 v18, -v18, v12, v20
	v_div_fmas_f32 v10, v18, v10, v12
	s_mov_b64 vcc, s[0:1]
	v_fma_f32 v12, -v23, v24, 1.0
	v_fmac_f32_e32 v24, v12, v24
	v_mul_f32_e32 v12, v9, v24
	v_fma_f32 v18, -v23, v12, v9
	v_fmac_f32_e32 v12, v18, v24
	v_fma_f32 v9, -v23, v12, v9
	v_div_fmas_f32 v9, v9, v24, v12
	v_mul_f32_e32 v18, v11, v14
	v_mul_f32_e32 v18, v13, v18
	v_sub_f32_e32 v20, v14, v13
	v_mul_f32_e32 v18, v20, v18
	v_div_scale_f32 v20, s[2:3], v6, v6, v18
	v_mov_b32_dpp v12, v4 row_ror:8 row_mask:0xf bank_mask:0xf bound_ctrl:1
	v_mov_b32_dpp v23, v3 row_ror:8 row_mask:0xf bank_mask:0xf bound_ctrl:1
	v_cmp_lt_f32_e32 vcc, v4, v12
	v_cndmask_b32_e32 v4, v12, v4, vcc
	v_cmp_gt_f32_e32 vcc, v3, v23
	v_mov_b32_dpp v24, v7 row_ror:8 row_mask:0xf bank_mask:0xf bound_ctrl:1
	v_cndmask_b32_e32 v3, v23, v3, vcc
	v_div_fixup_f32 v10, v10, v16, v17
	v_div_scale_f32 v17, vcc, v18, v6, v18
	v_mul_f32_e32 v23, v13, v24
	v_div_fixup_f32 v9, v9, v16, v21
	v_mul_f32_e32 v21, 0x40400000, v5
	v_fma_f32 v23, v7, v14, -v23
	v_mul_f32_e32 v21, v21, v23
	v_div_scale_f32 v23, s[0:1], v16, v16, v21
	v_mul_f32_e32 v11, v5, v11
	v_mul_f32_e32 v29, v14, v14
	;; [unrolled: 1-line block ×3, first 2 shown]
	v_fma_f32 v30, -v13, v14, v29
	v_rcp_f32_e32 v12, v20
	v_div_scale_f32 v28, s[0:1], v21, v16, v21
	v_mul_f32_e32 v11, v13, v11
	v_fmac_f32_e32 v30, v13, v13
	v_mul_f32_e32 v27, v16, v6
	v_mul_f32_e32 v11, v30, v11
	v_div_scale_f32 v30, s[2:3], v27, v27, v11
	v_add_f32_e32 v10, v10, v15
	v_add_f32_e32 v15, v7, v24
	;; [unrolled: 1-line block ×3, first 2 shown]
	v_fma_f32 v15, -v20, v12, 1.0
	v_fmac_f32_e32 v12, v15, v12
	v_mul_f32_e32 v15, v17, v12
	v_fma_f32 v31, -v20, v15, v17
	v_fmac_f32_e32 v15, v31, v12
	v_div_scale_f32 v31, s[2:3], v11, v27, v11
	v_rcp_f32_e32 v32, v23
	v_fma_f32 v17, -v20, v15, v17
	v_div_fmas_f32 v12, v17, v12, v15
	v_mul_f32_e32 v22, v22, v24
	v_fma_f32 v15, -v23, v32, 1.0
	v_fmac_f32_e32 v32, v15, v32
	v_mul_f32_e32 v15, v28, v32
	v_fma_f32 v17, -v23, v15, v28
	v_fmac_f32_e32 v15, v17, v32
	v_rcp_f32_e32 v17, v30
	v_mul_f32_e32 v19, 0x40c00000, v19
	v_fmac_f32_e32 v22, v29, v7
	v_fma_f32 v20, -v23, v15, v28
	s_mov_b64 vcc, s[0:1]
	v_mul_f32_e32 v7, v19, v22
	v_div_fmas_f32 v15, v20, v32, v15
	v_fma_f32 v20, -v30, v17, 1.0
	v_div_scale_f32 v19, s[0:1], v6, v6, v7
	v_fmac_f32_e32 v17, v20, v17
	v_mul_f32_e32 v20, v31, v17
	v_fma_f32 v23, -v30, v20, v31
	v_mov_b32_dpp v25, v8 row_ror:8 row_mask:0xf bank_mask:0xf bound_ctrl:1
	v_fmac_f32_e32 v20, v23, v17
	v_fma_f32 v23, -v30, v20, v31
	s_mov_b64 vcc, s[2:3]
	v_mul_f32_e32 v13, v13, v25
	v_div_fmas_f32 v17, v23, v17, v20
	v_div_scale_f32 v20, vcc, v7, v6, v7
	v_mul_f32_e32 v5, 4.0, v5
	v_fma_f32 v13, v8, v14, -v13
	v_mul_f32_e32 v5, v5, v13
	v_div_scale_f32 v13, s[0:1], v16, v16, v5
	v_div_scale_f32 v14, s[0:1], v5, v16, v5
	v_add_f32_e32 v8, v8, v25
	v_div_fixup_f32 v12, v12, v6, v18
	v_add_f32_e32 v8, v8, v12
	v_div_fixup_f32 v12, v15, v16, v21
	v_rcp_f32_e32 v15, v19
	v_add_f32_e32 v8, v12, v8
	v_div_fixup_f32 v11, v17, v27, v11
	v_mov_b32_dpp v26, v2 row_ror:8 row_mask:0xf bank_mask:0xf bound_ctrl:1
	v_fma_f32 v12, -v19, v15, 1.0
	v_fmac_f32_e32 v15, v12, v15
	v_mul_f32_e32 v12, v20, v15
	v_fma_f32 v17, -v19, v12, v20
	v_fmac_f32_e32 v12, v17, v15
	v_rcp_f32_e32 v17, v13
	v_fma_f32 v18, -v19, v12, v20
	v_div_fmas_f32 v12, v18, v15, v12
	s_mov_b64 vcc, s[0:1]
	v_fma_f32 v15, -v13, v17, 1.0
	v_fmac_f32_e32 v17, v15, v17
	v_mul_f32_e32 v15, v14, v17
	v_fma_f32 v18, -v13, v15, v14
	v_fmac_f32_e32 v15, v18, v17
	v_fma_f32 v13, -v13, v15, v14
	v_div_fmas_f32 v13, v13, v17, v15
	v_mov_b32_dpp v15, v10 row_bcast:15 row_mask:0xf bank_mask:0xf bound_ctrl:1
	v_mov_b32_dpp v14, v16 row_bcast:15 row_mask:0xf bank_mask:0xf bound_ctrl:1
	v_sub_f32_e32 v10, v10, v15
	v_add_f32_e32 v17, v16, v14
	v_mul_f32_e32 v18, v16, v10
	v_div_scale_f32 v19, s[0:1], v17, v17, v18
	v_add_f32_e32 v2, v2, v26
	v_add_f32_e32 v2, v2, v11
	v_mul_f32_e32 v11, v10, v10
	v_div_fixup_f32 v7, v12, v6, v7
	v_div_scale_f32 v12, vcc, v18, v17, v18
	v_mul_f32_e32 v20, v11, v14
	v_mul_f32_e32 v20, v16, v20
	v_div_scale_f32 v21, s[0:1], v17, v17, v20
	v_add_f32_e32 v2, v7, v2
	v_div_scale_f32 v7, s[0:1], v20, v17, v20
	v_div_fixup_f32 v5, v13, v16, v5
	v_rcp_f32_e32 v13, v19
	v_mul_f32_e32 v24, v10, v11
	v_mul_f32_e32 v23, v17, v17
	v_add_f32_e32 v2, v5, v2
	v_fma_f32 v25, -v19, v13, 1.0
	v_fmac_f32_e32 v13, v25, v13
	v_mul_f32_e32 v25, v12, v13
	v_fma_f32 v26, -v19, v25, v12
	v_fmac_f32_e32 v25, v26, v13
	v_fma_f32 v12, -v19, v25, v12
	v_rcp_f32_e32 v26, v21
	v_div_fmas_f32 v12, v12, v13, v25
	s_mov_b64 vcc, s[0:1]
	v_mov_b32_dpp v5, v4 row_bcast:15 row_mask:0xf bank_mask:0xf bound_ctrl:1
	v_fma_f32 v13, -v21, v26, 1.0
	v_fmac_f32_e32 v26, v13, v26
	v_mul_f32_e32 v13, v7, v26
	v_fma_f32 v19, -v21, v13, v7
	v_fmac_f32_e32 v13, v19, v26
	v_fma_f32 v7, -v21, v13, v7
	v_div_fmas_f32 v7, v7, v26, v13
	v_mul_f32_e32 v13, v24, v14
	v_mul_f32_e32 v13, v16, v13
	v_sub_f32_e32 v19, v14, v16
	v_mul_f32_e32 v13, v19, v13
	v_div_scale_f32 v19, s[0:1], v23, v23, v13
	v_mov_b32_dpp v22, v3 row_bcast:15 row_mask:0xf bank_mask:0xf bound_ctrl:1
	v_cmp_lt_f32_e32 vcc, v4, v5
	v_mov_b32_dpp v21, v9 row_bcast:15 row_mask:0xf bank_mask:0xf bound_ctrl:1
	v_cndmask_b32_e32 v4, v5, v4, vcc
	v_cmp_gt_f32_e32 vcc, v3, v22
	v_cndmask_b32_e32 v3, v22, v3, vcc
	v_mul_f32_e32 v22, v16, v21
	v_div_fixup_f32 v5, v12, v17, v18
	v_div_scale_f32 v18, vcc, v13, v23, v13
	v_div_fixup_f32 v7, v7, v17, v20
	v_mul_f32_e32 v20, 0x40400000, v10
	v_fma_f32 v22, v9, v14, -v22
	v_mul_f32_e32 v20, v20, v22
	v_div_scale_f32 v22, s[0:1], v17, v17, v20
	v_div_scale_f32 v28, s[0:1], v20, v17, v20
	v_mul_f32_e32 v24, v10, v24
	v_add_f32_e32 v5, v5, v15
	v_rcp_f32_e32 v15, v19
	v_mul_f32_e32 v29, v14, v14
	v_mul_f32_e32 v24, v24, v14
	v_fma_f32 v30, -v16, v14, v29
	v_mul_f32_e32 v24, v16, v24
	v_fmac_f32_e32 v30, v16, v16
	v_mul_f32_e32 v27, v17, v23
	v_mul_f32_e32 v24, v30, v24
	v_div_scale_f32 v30, s[2:3], v27, v27, v24
	v_fma_f32 v31, -v19, v15, 1.0
	v_fmac_f32_e32 v15, v31, v15
	v_mul_f32_e32 v31, v18, v15
	v_fma_f32 v32, -v19, v31, v18
	v_fmac_f32_e32 v31, v32, v15
	v_rcp_f32_e32 v32, v22
	v_fma_f32 v18, -v19, v31, v18
	v_div_fmas_f32 v15, v18, v15, v31
	v_mul_f32_e32 v6, v6, v21
	v_fma_f32 v18, -v22, v32, 1.0
	v_fmac_f32_e32 v32, v18, v32
	v_mul_f32_e32 v18, v28, v32
	v_fma_f32 v19, -v22, v18, v28
	v_fmac_f32_e32 v18, v19, v32
	v_fma_f32 v19, -v22, v18, v28
	v_div_scale_f32 v28, s[2:3], v24, v27, v24
	v_mul_f32_e32 v11, 0x40c00000, v11
	v_fmac_f32_e32 v6, v29, v9
	v_mul_f32_e32 v6, v11, v6
	v_add_f32_e32 v12, v9, v21
	v_div_scale_f32 v9, s[4:5], v23, v23, v6
	v_rcp_f32_e32 v22, v30
	s_mov_b64 vcc, s[0:1]
	v_div_fmas_f32 v11, v19, v32, v18
	v_mov_b32_dpp v25, v8 row_bcast:15 row_mask:0xf bank_mask:0xf bound_ctrl:1
	v_fma_f32 v18, -v30, v22, 1.0
	v_fmac_f32_e32 v22, v18, v22
	v_div_scale_f32 v18, s[0:1], v6, v23, v6
	v_mul_f32_e32 v16, v16, v25
	v_add_f32_e32 v7, v12, v7
	v_add_f32_e32 v12, v8, v25
	v_mul_f32_e32 v10, 4.0, v10
	v_fma_f32 v8, v8, v14, -v16
	v_mul_f32_e32 v8, v10, v8
	v_div_scale_f32 v10, s[4:5], v17, v17, v8
	v_mul_f32_e32 v14, v28, v22
	v_fma_f32 v16, -v30, v14, v28
	v_fmac_f32_e32 v14, v16, v22
	v_rcp_f32_e32 v16, v9
	v_div_scale_f32 v19, s[4:5], v8, v17, v8
	v_fma_f32 v21, -v30, v14, v28
	s_mov_b64 vcc, s[2:3]
	v_div_fmas_f32 v14, v21, v22, v14
	v_fma_f32 v21, -v9, v16, 1.0
	v_fmac_f32_e32 v16, v21, v16
	v_mul_f32_e32 v21, v18, v16
	v_fma_f32 v22, -v9, v21, v18
	v_fmac_f32_e32 v21, v22, v16
	v_fma_f32 v9, -v9, v21, v18
	s_mov_b64 vcc, s[0:1]
	v_div_fmas_f32 v9, v9, v16, v21
	v_rcp_f32_e32 v18, v10
	v_div_fixup_f32 v13, v15, v23, v13
	s_mov_b64 vcc, s[4:5]
	v_mov_b32_dpp v26, v2 row_bcast:15 row_mask:0xf bank_mask:0xf bound_ctrl:1
	v_fma_f32 v15, -v10, v18, 1.0
	v_fmac_f32_e32 v18, v15, v18
	v_mul_f32_e32 v15, v19, v18
	v_fma_f32 v16, -v10, v15, v19
	v_fmac_f32_e32 v15, v16, v18
	v_fma_f32 v10, -v10, v15, v19
	v_div_fmas_f32 v10, v10, v18, v15
	v_add_f32_e32 v12, v12, v13
	v_div_fixup_f32 v11, v11, v17, v20
	v_add_f32_e32 v11, v11, v12
	v_add_f32_e32 v2, v2, v26
	v_div_fixup_f32 v12, v14, v27, v24
	v_add_f32_e32 v2, v2, v12
	v_div_fixup_f32 v6, v9, v23, v6
	v_mov_b32_dpp v12, v5 row_bcast:31 row_mask:0xf bank_mask:0xf bound_ctrl:1
	v_mov_b32_dpp v9, v17 row_bcast:31 row_mask:0xf bank_mask:0xf bound_ctrl:1
	v_sub_f32_e32 v5, v5, v12
	v_add_f32_e32 v13, v17, v9
	v_mul_f32_e32 v14, v17, v5
	v_div_scale_f32 v15, s[0:1], v13, v13, v14
	v_add_f32_e32 v2, v6, v2
	v_div_fixup_f32 v6, v10, v17, v8
	v_add_f32_e32 v2, v6, v2
	v_mul_f32_e32 v21, v5, v5
	v_mov_b32_dpp v6, v4 row_bcast:31 row_mask:0xf bank_mask:0xf bound_ctrl:1
	v_cmp_lt_f32_e32 vcc, v4, v6
	v_cndmask_b32_e32 v4, v6, v4, vcc
	v_div_scale_f32 v25, vcc, v14, v13, v14
	v_mul_f32_e32 v26, v21, v9
	v_mul_f32_e32 v26, v17, v26
	v_div_scale_f32 v27, s[0:1], v13, v13, v26
	v_mov_b32_dpp v8, v3 row_bcast:31 row_mask:0xf bank_mask:0xf bound_ctrl:1
	v_rcp_f32_e32 v6, v15
	v_cmp_gt_f32_e64 s[0:1], v3, v8
	v_cndmask_b32_e64 v3, v8, v3, s[0:1]
	v_mul_f32_e32 v22, v5, v21
	v_fma_f32 v8, -v15, v6, 1.0
	v_fmac_f32_e32 v6, v8, v6
	v_div_scale_f32 v8, s[0:1], v26, v13, v26
	v_mul_f32_e32 v24, v5, v22
	v_mul_f32_e32 v22, v22, v9
	;; [unrolled: 1-line block ×3, first 2 shown]
	v_sub_f32_e32 v28, v9, v17
	v_mul_f32_e32 v19, v13, v13
	v_mul_f32_e32 v22, v28, v22
	v_div_scale_f32 v28, s[2:3], v19, v19, v22
	v_mul_f32_e32 v29, v25, v6
	v_fma_f32 v30, -v15, v29, v25
	v_fmac_f32_e32 v29, v30, v6
	v_rcp_f32_e32 v30, v27
	v_fma_f32 v15, -v15, v29, v25
	v_div_fmas_f32 v6, v15, v6, v29
	v_mov_b32_dpp v10, v7 row_bcast:31 row_mask:0xf bank_mask:0xf bound_ctrl:1
	v_fma_f32 v15, -v27, v30, 1.0
	v_fmac_f32_e32 v30, v15, v30
	v_mul_f32_e32 v15, v8, v30
	v_fma_f32 v25, -v27, v15, v8
	v_fmac_f32_e32 v15, v25, v30
	v_fma_f32 v8, -v27, v15, v8
	s_mov_b64 vcc, s[0:1]
	v_mul_f32_e32 v29, v17, v10
	v_div_fmas_f32 v8, v8, v30, v15
	v_div_scale_f32 v25, vcc, v22, v19, v22
	v_mul_f32_e32 v27, 0x40400000, v5
	v_fma_f32 v29, v7, v9, -v29
	v_mul_f32_e32 v27, v27, v29
	v_div_scale_f32 v29, s[0:1], v13, v13, v27
	v_rcp_f32_e32 v15, v28
	v_mul_f32_e32 v31, v9, v9
	v_mul_f32_e32 v24, v24, v9
	v_fma_f32 v32, -v17, v9, v31
	v_fma_f32 v30, -v28, v15, 1.0
	v_fmac_f32_e32 v15, v30, v15
	v_div_scale_f32 v30, s[0:1], v27, v13, v27
	v_mul_f32_e32 v24, v17, v24
	v_mul_f32_e32 v33, v25, v15
	v_fma_f32 v34, -v28, v33, v25
	v_fmac_f32_e32 v33, v34, v15
	v_fmac_f32_e32 v32, v17, v17
	v_mul_f32_e32 v20, v13, v19
	v_rcp_f32_e32 v34, v29
	v_mul_f32_e32 v24, v32, v24
	v_fma_f32 v25, -v28, v33, v25
	v_div_scale_f32 v32, s[2:3], v20, v20, v24
	v_div_fmas_f32 v15, v25, v15, v33
	v_fma_f32 v25, -v29, v34, 1.0
	v_fmac_f32_e32 v34, v25, v34
	v_mul_f32_e32 v25, v30, v34
	v_fma_f32 v28, -v29, v25, v30
	v_fmac_f32_e32 v25, v28, v34
	v_fma_f32 v28, -v29, v25, v30
	s_mov_b64 vcc, s[0:1]
	v_div_fmas_f32 v25, v28, v34, v25
	v_div_scale_f32 v29, vcc, v24, v20, v24
	v_mul_f32_e32 v23, v23, v10
	v_mul_f32_e32 v21, 0x40c00000, v21
	v_fmac_f32_e32 v23, v31, v7
	v_mul_f32_e32 v21, v21, v23
	v_div_scale_f32 v23, s[0:1], v19, v19, v21
	v_mov_b32_dpp v16, v11 row_bcast:31 row_mask:0xf bank_mask:0xf bound_ctrl:1
	v_mul_f32_e32 v17, v17, v16
	v_rcp_f32_e32 v28, v32
	v_div_scale_f32 v31, s[0:1], v21, v19, v21
	v_mul_f32_e32 v5, 4.0, v5
	v_fma_f32 v9, v11, v9, -v17
	v_mul_f32_e32 v5, v5, v9
	v_div_scale_f32 v9, s[2:3], v13, v13, v5
	v_fma_f32 v30, -v32, v28, 1.0
	v_fmac_f32_e32 v28, v30, v28
	v_mul_f32_e32 v17, v29, v28
	v_fma_f32 v30, -v32, v17, v29
	v_fmac_f32_e32 v17, v30, v28
	v_div_scale_f32 v30, s[2:3], v5, v13, v5
	v_rcp_f32_e32 v33, v23
	v_fma_f32 v29, -v32, v17, v29
	v_div_fmas_f32 v17, v29, v28, v17
	s_mov_b64 vcc, s[0:1]
	v_fma_f32 v28, -v23, v33, 1.0
	v_fmac_f32_e32 v33, v28, v33
	v_mul_f32_e32 v28, v31, v33
	v_fma_f32 v29, -v23, v28, v31
	v_fmac_f32_e32 v28, v29, v33
	v_rcp_f32_e32 v29, v9
	v_fma_f32 v23, -v23, v28, v31
	v_div_fmas_f32 v23, v23, v33, v28
	s_mov_b64 vcc, s[2:3]
	v_fma_f32 v28, -v9, v29, 1.0
	v_fmac_f32_e32 v29, v28, v29
	v_mul_f32_e32 v28, v30, v29
	v_fma_f32 v31, -v9, v28, v30
	v_fmac_f32_e32 v28, v31, v29
	v_fma_f32 v9, -v9, v28, v30
	v_div_fmas_f32 v9, v9, v29, v28
	v_add_f32_e32 v7, v7, v10
	v_div_fixup_f32 v8, v8, v13, v26
	v_add_f32_e32 v7, v7, v8
	v_add_f32_e32 v8, v11, v16
	v_div_fixup_f32 v10, v15, v19, v22
	v_mov_b32_dpp v18, v2 row_bcast:31 row_mask:0xf bank_mask:0xf bound_ctrl:1
	v_add_f32_e32 v8, v8, v10
	v_div_fixup_f32 v10, v25, v13, v27
	v_div_fixup_f32 v6, v6, v13, v14
	v_add_f32_e32 v14, v10, v8
	v_add_f32_e32 v2, v2, v18
	v_div_fixup_f32 v8, v17, v20, v24
	v_mbcnt_lo_u32_b32 v1, -1, 0
	v_add_f32_e32 v2, v2, v8
	v_div_fixup_f32 v8, v23, v19, v21
	v_mbcnt_hi_u32_b32 v1, -1, v1
	v_add_f32_e32 v2, v8, v2
	v_div_fixup_f32 v5, v9, v13, v5
	v_add_f32_e32 v5, v5, v2
	v_lshlrev_b32_e32 v2, 2, v1
	v_add_f32_e32 v6, v6, v12
	v_or_b32_e32 v15, 0xfc, v2
	ds_bpermute_b32 v8, v15, v13
	ds_bpermute_b32 v9, v15, v4
	;; [unrolled: 1-line block ×7, first 2 shown]
	v_cmp_eq_u32_e32 vcc, 0, v1
	s_and_saveexec_b64 s[0:1], vcc
	s_cbranch_execz .LBB31_6
; %bb.5:
	v_lshrrev_b32_e32 v3, 6, v0
	v_mul_u32_u24_e32 v3, 28, v3
	s_waitcnt lgkmcnt(5)
	ds_write2_b32 v3, v8, v9 offset0:84 offset1:85
	s_waitcnt lgkmcnt(4)
	ds_write2_b32 v3, v10, v11 offset0:86 offset1:87
	s_waitcnt lgkmcnt(3)
	ds_write2_b32 v3, v12, v13 offset0:88 offset1:89
	s_waitcnt lgkmcnt(3)
	ds_write_b32 v3, v14 offset:360
.LBB31_6:
	s_or_b64 exec, exec, s[0:1]
	v_cmp_gt_u32_e32 vcc, 64, v0
	s_waitcnt lgkmcnt(0)
	s_barrier
	s_and_saveexec_b64 s[4:5], vcc
	s_cbranch_execz .LBB31_8
; %bb.7:
	v_and_b32_e32 v9, 3, v1
	v_mul_u32_u24_e32 v10, 28, v9
	ds_read2_b32 v[3:4], v10 offset0:84 offset1:85
	ds_read2_b32 v[5:6], v10 offset0:86 offset1:87
	ds_read2_b32 v[7:8], v10 offset0:88 offset1:89
	ds_read_b32 v10, v10 offset:360
	v_cmp_ne_u32_e32 vcc, 3, v9
	v_addc_co_u32_e32 v1, vcc, 0, v1, vcc
	v_lshlrev_b32_e32 v1, 2, v1
	s_waitcnt lgkmcnt(2)
	ds_bpermute_b32 v11, v1, v6
	ds_bpermute_b32 v9, v1, v3
	;; [unrolled: 1-line block ×4, first 2 shown]
	s_waitcnt lgkmcnt(5)
	ds_bpermute_b32 v18, v1, v7
	s_waitcnt lgkmcnt(4)
	v_sub_f32_e32 v11, v11, v6
	s_waitcnt lgkmcnt(3)
	v_add_f32_e32 v12, v3, v9
	v_mul_f32_e32 v13, v11, v9
	v_div_scale_f32 v14, s[0:1], v12, v12, v13
	v_div_scale_f32 v16, vcc, v13, v12, v13
	v_mul_f32_e32 v21, v11, v11
	v_mul_f32_e32 v24, v3, v21
	;; [unrolled: 1-line block ×3, first 2 shown]
	v_div_scale_f32 v26, s[0:1], v12, v12, v24
	v_mul_f32_e32 v23, v11, v21
	v_mul_f32_e32 v20, v12, v12
	s_waitcnt lgkmcnt(1)
	v_cmp_lt_f32_e64 s[2:3], v5, v17
	v_cndmask_b32_e64 v5, v5, v17, s[2:3]
	v_mul_f32_e32 v17, 0x40400000, v11
	ds_bpermute_b32 v19, v1, v8
	v_mul_f32_e32 v22, v12, v20
	v_rcp_f32_e32 v25, v14
	v_mul_f32_e32 v21, 0x40c00000, v21
	ds_bpermute_b32 v1, v1, v10
	v_or_b32_e32 v2, 8, v2
	v_fma_f32 v27, -v14, v25, 1.0
	v_fmac_f32_e32 v25, v27, v25
	v_mul_f32_e32 v27, v16, v25
	v_fma_f32 v28, -v14, v27, v16
	v_fmac_f32_e32 v27, v28, v25
	v_fma_f32 v14, -v14, v27, v16
	v_div_fmas_f32 v14, v14, v25, v27
	v_mul_f32_e32 v25, v3, v23
	v_div_scale_f32 v16, vcc, v24, v12, v24
	v_mul_f32_e32 v25, v25, v9
	v_sub_f32_e32 v27, v3, v9
	v_mul_f32_e32 v25, v27, v25
	v_div_scale_f32 v27, s[0:1], v20, v20, v25
	v_cmp_gt_f32_e64 s[0:1], v4, v15
	v_cndmask_b32_e64 v4, v4, v15, s[0:1]
	v_div_scale_f32 v28, s[0:1], v25, v20, v25
	v_rcp_f32_e32 v15, v26
	v_mul_f32_e32 v23, v11, v23
	v_mul_f32_e32 v23, v3, v23
	v_div_fixup_f32 v13, v14, v12, v13
	v_add_f32_e32 v6, v6, v13
	v_fma_f32 v13, -v26, v15, 1.0
	v_fmac_f32_e32 v15, v13, v15
	v_mul_f32_e32 v13, v16, v15
	v_fma_f32 v14, -v26, v13, v16
	v_fmac_f32_e32 v13, v14, v15
	v_rcp_f32_e32 v14, v27
	v_fma_f32 v16, -v26, v13, v16
	v_div_fmas_f32 v13, v16, v15, v13
	v_mul_f32_e32 v26, v7, v9
	v_fma_f32 v15, -v27, v14, 1.0
	v_fmac_f32_e32 v14, v15, v14
	s_waitcnt lgkmcnt(2)
	v_fma_f32 v26, v3, v18, -v26
	v_mul_f32_e32 v15, v28, v14
	v_mul_f32_e32 v17, v17, v26
	v_fma_f32 v16, -v27, v15, v28
	v_div_scale_f32 v26, s[2:3], v12, v12, v17
	v_fmac_f32_e32 v15, v16, v14
	v_fma_f32 v16, -v27, v15, v28
	s_mov_b64 vcc, s[0:1]
	v_div_fmas_f32 v14, v16, v14, v15
	v_div_scale_f32 v16, vcc, v17, v12, v17
	v_add_f32_e32 v15, v7, v18
	v_div_fixup_f32 v13, v13, v12, v24
	v_mul_f32_e32 v27, v3, v3
	v_add_f32_e32 v13, v15, v13
	v_fma_f32 v28, -v3, v9, v27
	v_mul_f32_e32 v23, v23, v9
	v_fmac_f32_e32 v28, v9, v9
	v_mul_f32_e32 v23, v28, v23
	v_rcp_f32_e32 v15, v26
	s_waitcnt lgkmcnt(1)
	v_add_f32_e32 v24, v8, v19
	v_div_scale_f32 v28, s[0:1], v22, v22, v23
	v_mul_f32_e32 v18, v27, v18
	v_div_fixup_f32 v14, v14, v20, v25
	v_add_f32_e32 v14, v24, v14
	v_fma_f32 v24, -v26, v15, 1.0
	v_fmac_f32_e32 v15, v24, v15
	v_mul_f32_e32 v24, v16, v15
	v_fma_f32 v25, -v26, v24, v16
	v_fmac_f32_e32 v24, v25, v15
	v_fma_f32 v16, -v26, v24, v16
	v_div_fmas_f32 v15, v16, v15, v24
	v_div_scale_f32 v25, vcc, v23, v22, v23
	v_mul_f32_e32 v16, v9, v9
	v_fmac_f32_e32 v18, v7, v16
	v_mul_f32_e32 v7, v21, v18
	v_div_scale_f32 v16, s[0:1], v20, v20, v7
	v_mul_f32_e32 v8, v8, v9
	v_rcp_f32_e32 v24, v28
	v_div_scale_f32 v21, s[0:1], v7, v20, v7
	v_mul_f32_e32 v11, 4.0, v11
	v_fma_f32 v3, v3, v19, -v8
	v_mul_f32_e32 v3, v11, v3
	v_div_scale_f32 v8, s[2:3], v12, v12, v3
	v_fma_f32 v18, -v28, v24, 1.0
	v_fmac_f32_e32 v24, v18, v24
	v_mul_f32_e32 v9, v25, v24
	v_fma_f32 v11, -v28, v9, v25
	v_fmac_f32_e32 v9, v11, v24
	v_div_scale_f32 v11, s[2:3], v3, v12, v3
	v_rcp_f32_e32 v18, v16
	v_fma_f32 v19, -v28, v9, v25
	v_div_fmas_f32 v9, v19, v24, v9
	s_mov_b64 vcc, s[0:1]
	v_fma_f32 v19, -v16, v18, 1.0
	v_fmac_f32_e32 v18, v19, v18
	v_mul_f32_e32 v19, v21, v18
	v_fma_f32 v24, -v16, v19, v21
	v_fmac_f32_e32 v19, v24, v18
	v_rcp_f32_e32 v24, v8
	v_fma_f32 v16, -v16, v19, v21
	v_div_fmas_f32 v16, v16, v18, v19
	s_mov_b64 vcc, s[2:3]
	v_fma_f32 v18, -v8, v24, 1.0
	v_fmac_f32_e32 v24, v18, v24
	v_mul_f32_e32 v18, v11, v24
	v_fma_f32 v19, -v8, v18, v11
	v_fmac_f32_e32 v18, v19, v24
	v_fma_f32 v8, -v8, v18, v11
	v_div_fmas_f32 v11, v8, v24, v18
	s_waitcnt lgkmcnt(0)
	v_add_f32_e32 v1, v10, v1
	ds_bpermute_b32 v10, v2, v6
	v_div_fixup_f32 v8, v15, v12, v17
	ds_bpermute_b32 v15, v2, v12
	v_add_f32_e32 v14, v8, v14
	v_div_fixup_f32 v8, v9, v22, v23
	v_add_f32_e32 v1, v1, v8
	v_div_fixup_f32 v7, v16, v20, v7
	s_waitcnt lgkmcnt(1)
	v_sub_f32_e32 v16, v10, v6
	s_waitcnt lgkmcnt(0)
	v_add_f32_e32 v8, v12, v15
	v_mul_f32_e32 v17, v16, v15
	v_div_scale_f32 v18, s[0:1], v8, v8, v17
	v_add_f32_e32 v1, v7, v1
	ds_bpermute_b32 v7, v2, v5
	v_div_fixup_f32 v3, v11, v12, v3
	v_add_f32_e32 v1, v3, v1
	ds_bpermute_b32 v3, v2, v4
	v_mul_f32_e32 v11, v16, v16
	v_mul_f32_e32 v10, v12, v11
	;; [unrolled: 1-line block ×3, first 2 shown]
	v_div_scale_f32 v27, s[0:1], v8, v8, v26
	s_waitcnt lgkmcnt(0)
	v_cmp_gt_f32_e32 vcc, v4, v3
	v_cndmask_b32_e32 v9, v4, v3, vcc
	v_div_scale_f32 v4, vcc, v17, v8, v17
	v_rcp_f32_e32 v3, v18
	v_cmp_lt_f32_e64 s[0:1], v5, v7
	v_cndmask_b32_e64 v10, v5, v7, s[0:1]
	v_mul_f32_e32 v24, v16, v11
	v_fma_f32 v5, -v18, v3, 1.0
	v_fmac_f32_e32 v3, v5, v3
	v_div_scale_f32 v5, s[0:1], v26, v8, v26
	v_mul_f32_e32 v7, v12, v24
	v_mul_f32_e32 v25, v16, v24
	;; [unrolled: 1-line block ×3, first 2 shown]
	v_sub_f32_e32 v24, v12, v15
	v_mul_f32_e32 v22, v8, v8
	v_mul_f32_e32 v7, v24, v7
	;; [unrolled: 1-line block ×3, first 2 shown]
	v_fma_f32 v29, -v18, v28, v4
	v_fmac_f32_e32 v28, v29, v3
	v_rcp_f32_e32 v29, v27
	v_div_scale_f32 v24, s[2:3], v22, v22, v7
	ds_bpermute_b32 v19, v2, v13
	v_fma_f32 v4, -v18, v28, v4
	v_div_fmas_f32 v3, v4, v3, v28
	v_fma_f32 v4, -v27, v29, 1.0
	v_fmac_f32_e32 v29, v4, v29
	v_mul_f32_e32 v18, v5, v29
	v_fma_f32 v28, -v27, v18, v5
	v_mul_f32_e32 v30, v13, v15
	v_div_scale_f32 v4, s[2:3], v7, v22, v7
	v_fmac_f32_e32 v18, v28, v29
	v_mul_f32_e32 v28, 0x40400000, v16
	s_waitcnt lgkmcnt(0)
	v_fma_f32 v30, v12, v19, -v30
	v_mul_f32_e32 v28, v28, v30
	v_div_scale_f32 v30, s[8:9], v8, v8, v28
	v_fma_f32 v5, -v27, v18, v5
	s_mov_b64 vcc, s[0:1]
	v_div_fmas_f32 v5, v5, v29, v18
	v_div_scale_f32 v29, s[0:1], v28, v8, v28
	v_rcp_f32_e32 v27, v24
	v_mul_f32_e32 v25, v12, v25
	v_fma_f32 v31, -v12, v15, v20
	v_mul_f32_e32 v25, v25, v15
	v_fma_f32 v18, -v24, v27, 1.0
	v_fmac_f32_e32 v27, v18, v27
	v_mul_f32_e32 v18, v4, v27
	v_fma_f32 v32, -v24, v18, v4
	v_fmac_f32_e32 v18, v32, v27
	v_rcp_f32_e32 v32, v30
	v_fmac_f32_e32 v31, v15, v15
	v_mul_f32_e32 v23, v8, v22
	v_mul_f32_e32 v25, v31, v25
	v_fma_f32 v4, -v24, v18, v4
	s_mov_b64 vcc, s[2:3]
	v_div_scale_f32 v31, s[8:9], v23, v23, v25
	v_div_fmas_f32 v4, v4, v27, v18
	v_fma_f32 v18, -v30, v32, 1.0
	v_fmac_f32_e32 v32, v18, v32
	v_mul_f32_e32 v18, v29, v32
	v_fma_f32 v24, -v30, v18, v29
	v_fmac_f32_e32 v18, v24, v32
	v_fma_f32 v24, -v30, v18, v29
	s_mov_b64 vcc, s[0:1]
	v_div_fmas_f32 v18, v24, v32, v18
	v_div_scale_f32 v29, vcc, v25, v23, v25
	v_mul_f32_e32 v24, v15, v15
	v_mul_f32_e32 v20, v20, v19
	;; [unrolled: 1-line block ×3, first 2 shown]
	v_fmac_f32_e32 v20, v24, v13
	v_mul_f32_e32 v20, v11, v20
	v_div_scale_f32 v11, s[0:1], v22, v22, v20
	ds_bpermute_b32 v21, v2, v14
	v_mul_f32_e32 v15, v14, v15
	v_rcp_f32_e32 v27, v31
	v_div_scale_f32 v30, s[0:1], v20, v22, v20
	v_mul_f32_e32 v16, 4.0, v16
	s_waitcnt lgkmcnt(0)
	v_fma_f32 v12, v12, v21, -v15
	v_mul_f32_e32 v15, v16, v12
	v_div_scale_f32 v12, s[2:3], v8, v8, v15
	v_fma_f32 v24, -v31, v27, 1.0
	v_fmac_f32_e32 v27, v24, v27
	v_mul_f32_e32 v16, v29, v27
	v_fma_f32 v24, -v31, v16, v29
	v_fmac_f32_e32 v16, v24, v27
	v_div_scale_f32 v24, s[2:3], v15, v8, v15
	v_rcp_f32_e32 v32, v11
	v_fma_f32 v29, -v31, v16, v29
	v_div_fmas_f32 v16, v29, v27, v16
	s_mov_b64 vcc, s[0:1]
	v_fma_f32 v27, -v11, v32, 1.0
	v_fmac_f32_e32 v32, v27, v32
	v_mul_f32_e32 v27, v30, v32
	v_fma_f32 v29, -v11, v27, v30
	v_fmac_f32_e32 v27, v29, v32
	v_rcp_f32_e32 v29, v12
	v_fma_f32 v11, -v11, v27, v30
	v_div_fmas_f32 v27, v11, v32, v27
	s_mov_b64 vcc, s[2:3]
	v_fma_f32 v11, -v12, v29, 1.0
	v_fmac_f32_e32 v29, v11, v29
	v_mul_f32_e32 v11, v24, v29
	v_fma_f32 v30, -v12, v11, v24
	v_fmac_f32_e32 v11, v30, v29
	v_fma_f32 v12, -v12, v11, v24
	v_div_fmas_f32 v24, v12, v29, v11
	ds_bpermute_b32 v2, v2, v1
	v_div_fixup_f32 v3, v3, v8, v17
	v_add_f32_e32 v11, v6, v3
	v_add_f32_e32 v3, v13, v19
	v_div_fixup_f32 v5, v5, v8, v26
	s_waitcnt lgkmcnt(0)
	v_add_f32_e32 v1, v1, v2
	v_div_fixup_f32 v2, v16, v23, v25
	v_add_f32_e32 v12, v3, v5
	v_add_f32_e32 v3, v14, v21
	v_div_fixup_f32 v4, v4, v22, v7
	v_add_f32_e32 v1, v1, v2
	v_div_fixup_f32 v2, v27, v22, v20
	;; [unrolled: 2-line block ×4, first 2 shown]
	v_add_f32_e32 v13, v4, v3
	v_add_f32_e32 v14, v2, v1
.LBB31_8:
	s_or_b64 exec, exec, s[4:5]
	s_branch .LBB31_54
.LBB31_9:
	s_mov_b64 s[28:29], 0
                                        ; implicit-def: $vgpr7
                                        ; implicit-def: $vgpr4
	s_cbranch_execnz .LBB31_91
	s_branch .LBB31_99
.LBB31_10:
	s_mov_b64 s[12:13], -1
.LBB31_11:
	s_mov_b64 s[28:29], 0
                                        ; implicit-def: $vgpr7
                                        ; implicit-def: $vgpr4
	s_and_b64 vcc, exec, s[12:13]
	s_cbranch_vccz .LBB31_59
.LBB31_12:
	s_cmp_eq_u32 s33, 2
	s_cbranch_scc0 .LBB31_19
; %bb.13:
	s_mov_b32 s7, 0
	s_lshl_b32 s12, s6, 9
	s_mov_b32 s13, s7
	s_lshr_b64 s[0:1], s[16:17], 9
	s_lshl_b64 s[2:3], s[12:13], 2
	s_add_u32 s10, s14, s2
	s_addc_u32 s11, s15, s3
	s_cmp_lg_u64 s[0:1], s[6:7]
	s_cbranch_scc0 .LBB31_60
; %bb.14:
	s_waitcnt lgkmcnt(0)
	v_lshlrev_b32_e32 v1, 2, v0
	global_load_dword v2, v1, s[10:11]
	global_load_dword v3, v1, s[10:11] offset:1024
	v_mov_b32_e32 v4, 2.0
	s_mov_b32 s1, 0x3e000000
	s_mov_b32 s0, 0x3e800000
	v_mov_b32_dpp v4, v4 quad_perm:[1,0,3,2] row_mask:0xf bank_mask:0xf bound_ctrl:1
	v_add_f32_e32 v5, 2.0, v4
	v_mul_f32_e32 v7, v4, v4
	v_add_f32_e32 v6, -2.0, v4
	v_fma_f32 v9, -2.0, v4, v7
	v_add_f32_e32 v9, 4.0, v9
	v_mul_f32_e32 v8, v5, v5
	v_mul_f32_e32 v10, v5, v8
	v_mbcnt_lo_u32_b32 v1, -1, 0
	v_mbcnt_hi_u32_b32 v1, -1, v1
	s_waitcnt vmcnt(0)
	v_cmp_lt_f32_e32 vcc, v3, v2
	v_sub_f32_e32 v11, v3, v2
	v_cndmask_b32_e32 v12, v2, v3, vcc
	v_cmp_lt_f32_e32 vcc, v2, v3
	v_cndmask_b32_e32 v3, v2, v3, vcc
	v_fmac_f32_e32 v2, 0.5, v11
	v_mov_b32_dpp v16, v12 quad_perm:[1,0,3,2] row_mask:0xf bank_mask:0xf bound_ctrl:1
	v_mul_f32_e32 v13, v11, v11
	v_mov_b32_dpp v17, v3 quad_perm:[1,0,3,2] row_mask:0xf bank_mask:0xf bound_ctrl:1
	v_mov_b32_dpp v21, v2 quad_perm:[1,0,3,2] row_mask:0xf bank_mask:0xf bound_ctrl:1
	v_cmp_lt_f32_e32 vcc, v12, v16
	v_mul_f32_e32 v18, v11, v13
	v_mul_f32_e32 v19, 0.5, v13
	v_mul_f32_e32 v20, 0x40c00000, v13
	v_cndmask_b32_e32 v12, v16, v12, vcc
	v_cmp_gt_f32_e32 vcc, v3, v17
	v_sub_f32_e32 v2, v2, v21
	v_mul_f32_e32 v14, 0x40400000, v11
	v_mul_f32_e32 v15, 4.0, v11
	v_cndmask_b32_e32 v3, v17, v3, vcc
	v_mul_f32_e32 v11, v11, v18
	v_mul_f32_e32 v16, 0, v18
	;; [unrolled: 1-line block ×3, first 2 shown]
	v_mov_b32_dpp v18, v19 quad_perm:[1,0,3,2] row_mask:0xf bank_mask:0xf bound_ctrl:1
	v_mul_f32_e32 v20, v2, v2
	v_fma_f32 v11, v11, s1, 0
	v_add_f32_e32 v22, v2, v2
	v_add_f32_e32 v24, v18, v18
	v_mul_f32_e32 v26, v20, v4
	v_fma_f32 v16, v16, s0, 0
	v_mul_f32_e32 v23, 0x40400000, v2
	v_fmac_f32_e32 v11, 0x3e800000, v17
	v_div_scale_f32 v17, s[0:1], v5, v5, v22
	v_fma_f32 v24, v19, v4, -v24
	v_add_f32_e32 v26, v26, v26
	v_mul_f32_e32 v23, v23, v24
	v_div_scale_f32 v24, s[0:1], v5, v5, v26
	v_div_scale_f32 v28, s[0:1], v5, v5, v23
	v_div_scale_f32 v25, vcc, v22, v5, v22
	v_div_scale_f32 v29, s[0:1], v26, v5, v26
	v_mul_f32_e32 v14, 0, v14
	v_fmac_f32_e32 v16, 0.5, v14
	v_mul_f32_e32 v14, v2, v20
	v_mul_f32_e32 v27, v2, v14
	;; [unrolled: 1-line block ×3, first 2 shown]
	v_add_f32_e32 v14, v14, v14
	v_mul_f32_e32 v27, v27, v4
	v_mul_f32_e32 v6, v6, v14
	v_add_f32_e32 v14, v27, v27
	v_mul_f32_e32 v9, v9, v14
	v_rcp_f32_e32 v14, v17
	v_rcp_f32_e32 v32, v24
	v_rcp_f32_e32 v33, v28
	v_div_scale_f32 v27, s[4:5], v8, v8, v6
	v_fma_f32 v34, -v17, v14, 1.0
	v_div_scale_f32 v31, s[4:5], v10, v10, v9
	v_fmac_f32_e32 v14, v34, v14
	v_fma_f32 v35, -v24, v32, 1.0
	v_mul_f32_e32 v34, v25, v14
	v_fmac_f32_e32 v32, v35, v32
	v_fma_f32 v35, -v28, v33, 1.0
	v_div_scale_f32 v30, s[2:3], v23, v5, v23
	v_fmac_f32_e32 v33, v35, v33
	v_fma_f32 v35, -v17, v34, v25
	v_fmac_f32_e32 v34, v35, v14
	v_fma_f32 v17, -v17, v34, v25
	v_div_scale_f32 v35, s[4:5], v6, v8, v6
	v_div_fmas_f32 v14, v17, v14, v34
	v_mul_f32_e32 v17, v29, v32
	v_fma_f32 v34, -v24, v17, v29
	v_div_scale_f32 v25, s[8:9], v9, v10, v9
	v_fmac_f32_e32 v17, v34, v32
	v_fma_f32 v24, -v24, v17, v29
	s_mov_b64 vcc, s[0:1]
	v_div_fmas_f32 v17, v24, v32, v17
	v_rcp_f32_e32 v34, v27
	v_rcp_f32_e32 v29, v31
	v_mul_f32_e32 v32, v30, v33
	v_fma_f32 v13, 0.5, v13, v18
	v_fma_f32 v24, -v27, v34, 1.0
	v_fmac_f32_e32 v34, v24, v34
	v_fma_f32 v24, -v28, v32, v30
	v_fmac_f32_e32 v32, v24, v33
	v_fma_f32 v24, -v31, v29, 1.0
	v_mul_f32_e32 v18, 4.0, v18
	v_fmac_f32_e32 v29, v24, v29
	v_mul_f32_e32 v24, v35, v34
	v_mul_f32_e32 v20, 0x40c00000, v20
	v_fmac_f32_e32 v18, v19, v7
	v_fma_f32 v28, -v28, v32, v30
	v_fma_f32 v30, -v27, v24, v35
	v_mul_f32_e32 v7, v20, v18
	v_fmac_f32_e32 v24, v30, v34
	v_mul_f32_e32 v30, v25, v29
	v_div_scale_f32 v18, s[0:1], v8, v8, v7
	v_fma_f32 v27, -v27, v24, v35
	v_fma_f32 v35, -v31, v30, v25
	s_mov_b64 vcc, s[4:5]
	v_fmac_f32_e32 v30, v35, v29
	v_div_fmas_f32 v24, v27, v34, v24
	s_mov_b64 vcc, s[2:3]
	v_div_fixup_f32 v17, v17, v5, v26
	v_mul_f32_e32 v15, 0, v15
	v_div_fmas_f32 v27, v28, v33, v32
	v_add_f32_e32 v13, v13, v17
	v_fma_f32 v17, -v31, v30, v25
	s_mov_b64 vcc, s[8:9]
	v_fmac_f32_e32 v11, 0.5, v15
	v_mov_b32_dpp v15, v16 quad_perm:[1,0,3,2] row_mask:0xf bank_mask:0xf bound_ctrl:1
	v_div_fmas_f32 v17, v17, v29, v30
	v_add_f32_e32 v20, v15, v15
	v_div_scale_f32 v19, vcc, v7, v8, v7
	v_mul_f32_e32 v2, 4.0, v2
	v_fma_f32 v4, v16, v4, -v20
	v_mul_f32_e32 v2, v2, v4
	v_div_scale_f32 v4, s[0:1], v5, v5, v2
	v_add_f32_e32 v15, v16, v15
	v_div_scale_f32 v16, s[0:1], v2, v5, v2
	v_rcp_f32_e32 v20, v18
	v_div_fixup_f32 v6, v24, v8, v6
	v_add_f32_e32 v6, v15, v6
	v_div_fixup_f32 v15, v27, v5, v23
	v_div_fixup_f32 v9, v17, v10, v9
	v_fma_f32 v10, -v18, v20, 1.0
	v_fmac_f32_e32 v20, v10, v20
	v_mul_f32_e32 v10, v19, v20
	v_add_f32_e32 v6, v15, v6
	v_fma_f32 v15, -v18, v10, v19
	v_fmac_f32_e32 v10, v15, v20
	v_rcp_f32_e32 v15, v4
	v_fma_f32 v17, -v18, v10, v19
	v_div_fmas_f32 v10, v17, v20, v10
	v_div_fixup_f32 v14, v14, v5, v22
	v_fma_f32 v17, -v4, v15, 1.0
	v_fmac_f32_e32 v15, v17, v15
	v_mul_f32_e32 v17, v16, v15
	v_fma_f32 v18, -v4, v17, v16
	v_fmac_f32_e32 v17, v18, v15
	v_add_f32_e32 v14, v14, v21
	v_fma_f32 v4, -v4, v17, v16
	s_mov_b64 vcc, s[0:1]
	v_div_fmas_f32 v4, v4, v15, v17
	v_mov_b32_dpp v16, v14 quad_perm:[2,3,0,1] row_mask:0xf bank_mask:0xf bound_ctrl:1
	v_mov_b32_dpp v15, v5 quad_perm:[2,3,0,1] row_mask:0xf bank_mask:0xf bound_ctrl:1
	v_sub_f32_e32 v14, v14, v16
	v_add_f32_e32 v17, v5, v15
	v_mul_f32_e32 v18, v5, v14
	v_div_scale_f32 v19, s[0:1], v17, v17, v18
	v_mov_b32_dpp v35, v11 quad_perm:[1,0,3,2] row_mask:0xf bank_mask:0xf bound_ctrl:1
	v_add_f32_e32 v11, v11, v35
	v_div_fixup_f32 v7, v10, v8, v7
	v_mul_f32_e32 v10, v14, v14
	v_add_f32_e32 v9, v11, v9
	v_div_scale_f32 v11, vcc, v18, v17, v18
	v_mul_f32_e32 v20, v10, v15
	v_mul_f32_e32 v20, v5, v20
	v_div_scale_f32 v21, s[0:1], v17, v17, v20
	v_add_f32_e32 v7, v7, v9
	v_div_fixup_f32 v2, v4, v5, v2
	v_add_f32_e32 v2, v2, v7
	v_div_scale_f32 v7, s[0:1], v20, v17, v20
	v_rcp_f32_e32 v9, v19
	v_mul_f32_e32 v24, v14, v10
	v_mul_f32_e32 v23, v17, v17
	v_mov_b32_dpp v4, v12 quad_perm:[2,3,0,1] row_mask:0xf bank_mask:0xf bound_ctrl:1
	v_fma_f32 v25, -v19, v9, 1.0
	v_fmac_f32_e32 v9, v25, v9
	v_mul_f32_e32 v25, v11, v9
	v_fma_f32 v26, -v19, v25, v11
	v_fmac_f32_e32 v25, v26, v9
	v_rcp_f32_e32 v26, v21
	v_fma_f32 v11, -v19, v25, v11
	v_div_fmas_f32 v9, v11, v9, v25
	s_mov_b64 vcc, s[0:1]
	v_fma_f32 v11, -v21, v26, 1.0
	v_fmac_f32_e32 v26, v11, v26
	v_mul_f32_e32 v11, v7, v26
	v_fma_f32 v19, -v21, v11, v7
	v_fmac_f32_e32 v11, v19, v26
	v_fma_f32 v7, -v21, v11, v7
	v_div_fmas_f32 v7, v7, v26, v11
	v_mul_f32_e32 v11, v24, v15
	v_mul_f32_e32 v11, v5, v11
	v_sub_f32_e32 v19, v15, v5
	v_mul_f32_e32 v11, v19, v11
	v_div_scale_f32 v19, s[0:1], v23, v23, v11
	v_mov_b32_dpp v22, v3 quad_perm:[2,3,0,1] row_mask:0xf bank_mask:0xf bound_ctrl:1
	v_cmp_lt_f32_e32 vcc, v12, v4
	v_mov_b32_dpp v21, v13 quad_perm:[2,3,0,1] row_mask:0xf bank_mask:0xf bound_ctrl:1
	v_cndmask_b32_e32 v4, v4, v12, vcc
	v_cmp_gt_f32_e32 vcc, v3, v22
	v_cndmask_b32_e32 v3, v22, v3, vcc
	v_mul_f32_e32 v22, v5, v21
	v_div_fixup_f32 v9, v9, v17, v18
	v_div_scale_f32 v18, vcc, v11, v23, v11
	v_div_fixup_f32 v7, v7, v17, v20
	v_mul_f32_e32 v20, 0x40400000, v14
	v_fma_f32 v22, v13, v15, -v22
	v_mul_f32_e32 v20, v20, v22
	v_div_scale_f32 v22, s[0:1], v17, v17, v20
	v_div_scale_f32 v28, s[0:1], v20, v17, v20
	v_mul_f32_e32 v24, v14, v24
	v_add_f32_e32 v9, v9, v16
	v_rcp_f32_e32 v16, v19
	v_mul_f32_e32 v29, v15, v15
	v_mul_f32_e32 v24, v24, v15
	v_fma_f32 v30, -v5, v15, v29
	v_mul_f32_e32 v24, v5, v24
	v_fmac_f32_e32 v30, v5, v5
	v_mul_f32_e32 v27, v17, v23
	v_mul_f32_e32 v24, v30, v24
	v_div_scale_f32 v30, s[2:3], v27, v27, v24
	v_fma_f32 v31, -v19, v16, 1.0
	v_fmac_f32_e32 v16, v31, v16
	v_mul_f32_e32 v31, v18, v16
	v_fma_f32 v32, -v19, v31, v18
	v_fmac_f32_e32 v31, v32, v16
	v_rcp_f32_e32 v32, v22
	v_fma_f32 v18, -v19, v31, v18
	v_div_fmas_f32 v16, v18, v16, v31
	v_mul_f32_e32 v8, v8, v21
	v_fma_f32 v18, -v22, v32, 1.0
	v_fmac_f32_e32 v32, v18, v32
	v_mul_f32_e32 v18, v28, v32
	v_fma_f32 v19, -v22, v18, v28
	v_fmac_f32_e32 v18, v19, v32
	v_fma_f32 v19, -v22, v18, v28
	v_div_scale_f32 v28, s[2:3], v24, v27, v24
	v_mul_f32_e32 v10, 0x40c00000, v10
	v_fmac_f32_e32 v8, v29, v13
	v_mul_f32_e32 v8, v10, v8
	v_div_scale_f32 v10, s[4:5], v23, v23, v8
	v_rcp_f32_e32 v22, v30
	s_mov_b64 vcc, s[0:1]
	v_mov_b32_dpp v25, v6 quad_perm:[2,3,0,1] row_mask:0xf bank_mask:0xf bound_ctrl:1
	v_add_f32_e32 v12, v13, v21
	v_div_fmas_f32 v13, v19, v32, v18
	v_fma_f32 v18, -v30, v22, 1.0
	v_fmac_f32_e32 v22, v18, v22
	v_div_scale_f32 v18, s[0:1], v8, v23, v8
	v_mul_f32_e32 v5, v5, v25
	v_mul_f32_e32 v14, 4.0, v14
	v_fma_f32 v5, v6, v15, -v5
	v_mul_f32_e32 v5, v14, v5
	v_add_f32_e32 v7, v12, v7
	v_add_f32_e32 v12, v6, v25
	v_div_scale_f32 v6, s[4:5], v17, v17, v5
	v_mul_f32_e32 v14, v28, v22
	v_fma_f32 v15, -v30, v14, v28
	v_div_scale_f32 v19, s[4:5], v5, v17, v5
	v_fmac_f32_e32 v14, v15, v22
	v_rcp_f32_e32 v15, v10
	v_fma_f32 v21, -v30, v14, v28
	s_mov_b64 vcc, s[2:3]
	v_div_fmas_f32 v14, v21, v22, v14
	v_fma_f32 v21, -v10, v15, 1.0
	v_fmac_f32_e32 v15, v21, v15
	v_mul_f32_e32 v21, v18, v15
	v_fma_f32 v22, -v10, v21, v18
	v_fmac_f32_e32 v21, v22, v15
	v_fma_f32 v10, -v10, v21, v18
	v_rcp_f32_e32 v18, v6
	s_mov_b64 vcc, s[0:1]
	v_div_fmas_f32 v10, v10, v15, v21
	v_div_fixup_f32 v11, v16, v23, v11
	v_fma_f32 v15, -v6, v18, 1.0
	v_fmac_f32_e32 v18, v15, v18
	v_mul_f32_e32 v15, v19, v18
	v_fma_f32 v16, -v6, v15, v19
	v_fmac_f32_e32 v15, v16, v18
	v_fma_f32 v6, -v6, v15, v19
	s_mov_b64 vcc, s[4:5]
	v_div_fmas_f32 v6, v6, v18, v15
	v_mov_b32_dpp v26, v2 quad_perm:[2,3,0,1] row_mask:0xf bank_mask:0xf bound_ctrl:1
	v_add_f32_e32 v11, v12, v11
	v_div_fixup_f32 v12, v13, v17, v20
	v_add_f32_e32 v11, v12, v11
	v_add_f32_e32 v2, v2, v26
	v_div_fixup_f32 v12, v14, v27, v24
	v_add_f32_e32 v2, v2, v12
	v_div_fixup_f32 v8, v10, v23, v8
	v_mov_b32_dpp v12, v9 row_ror:4 row_mask:0xf bank_mask:0xf bound_ctrl:1
	v_mov_b32_dpp v10, v17 row_ror:4 row_mask:0xf bank_mask:0xf bound_ctrl:1
	v_sub_f32_e32 v9, v9, v12
	v_add_f32_e32 v13, v17, v10
	v_mul_f32_e32 v14, v17, v9
	v_div_scale_f32 v15, s[0:1], v13, v13, v14
	v_div_fixup_f32 v5, v6, v17, v5
	v_div_scale_f32 v6, vcc, v14, v13, v14
	v_mul_f32_e32 v16, v9, v9
	v_mul_f32_e32 v18, v16, v10
	;; [unrolled: 1-line block ×3, first 2 shown]
	v_div_scale_f32 v19, s[0:1], v13, v13, v18
	v_mul_f32_e32 v26, v9, v16
	v_mul_f32_e32 v27, v9, v26
	;; [unrolled: 1-line block ×5, first 2 shown]
	v_mov_b32_dpp v20, v7 row_ror:4 row_mask:0xf bank_mask:0xf bound_ctrl:1
	v_rcp_f32_e32 v24, v15
	v_mul_f32_e32 v32, v17, v20
	v_mul_f32_e32 v31, 0x40400000, v9
	v_fma_f32 v32, v7, v10, -v32
	v_fma_f32 v28, -v15, v24, 1.0
	v_fmac_f32_e32 v24, v28, v24
	v_mul_f32_e32 v28, v6, v24
	v_fma_f32 v29, -v15, v28, v6
	v_fmac_f32_e32 v28, v29, v24
	v_fma_f32 v6, -v15, v28, v6
	v_div_fmas_f32 v6, v6, v24, v28
	v_div_scale_f32 v24, vcc, v18, v13, v18
	v_sub_f32_e32 v28, v10, v17
	v_mul_f32_e32 v26, v28, v26
	v_div_scale_f32 v28, s[0:1], v22, v22, v26
	v_rcp_f32_e32 v15, v19
	v_div_scale_f32 v30, s[0:1], v26, v22, v26
	v_mul_f32_e32 v31, v31, v32
	v_div_scale_f32 v32, s[2:3], v13, v13, v31
	v_fma_f32 v29, -v19, v15, 1.0
	v_fmac_f32_e32 v15, v29, v15
	v_mul_f32_e32 v27, v27, v10
	v_mul_f32_e32 v27, v17, v27
	;; [unrolled: 1-line block ×3, first 2 shown]
	v_fma_f32 v33, -v19, v29, v24
	v_fmac_f32_e32 v29, v33, v15
	v_div_scale_f32 v33, s[2:3], v31, v13, v31
	v_rcp_f32_e32 v34, v28
	v_fma_f32 v19, -v19, v29, v24
	v_div_fmas_f32 v15, v19, v15, v29
	s_mov_b64 vcc, s[0:1]
	v_fma_f32 v19, -v28, v34, 1.0
	v_fmac_f32_e32 v34, v19, v34
	v_mul_f32_e32 v19, v30, v34
	v_fma_f32 v24, -v28, v19, v30
	v_fmac_f32_e32 v19, v24, v34
	v_rcp_f32_e32 v24, v32
	v_fma_f32 v28, -v28, v19, v30
	v_div_fmas_f32 v19, v28, v34, v19
	s_mov_b64 vcc, s[2:3]
	v_fma_f32 v28, -v32, v24, 1.0
	v_fmac_f32_e32 v24, v28, v24
	v_mul_f32_e32 v28, v33, v24
	v_fma_f32 v29, -v32, v28, v33
	v_fmac_f32_e32 v28, v29, v24
	v_fma_f32 v29, -v32, v28, v33
	v_div_fmas_f32 v24, v29, v24, v28
	v_mul_f32_e32 v28, v10, v10
	v_fma_f32 v29, -v17, v10, v28
	v_fmac_f32_e32 v29, v17, v17
	v_mul_f32_e32 v25, v13, v22
	v_mul_f32_e32 v27, v29, v27
	v_div_scale_f32 v29, s[0:1], v25, v25, v27
	v_add_f32_e32 v2, v8, v2
	v_add_f32_e32 v2, v5, v2
	v_mov_b32_dpp v5, v4 row_ror:4 row_mask:0xf bank_mask:0xf bound_ctrl:1
	v_mov_b32_dpp v8, v3 row_ror:4 row_mask:0xf bank_mask:0xf bound_ctrl:1
	v_cmp_lt_f32_e32 vcc, v4, v5
	v_cndmask_b32_e32 v4, v5, v4, vcc
	v_cmp_gt_f32_e32 vcc, v3, v8
	v_cndmask_b32_e32 v3, v8, v3, vcc
	v_div_fixup_f32 v5, v6, v13, v14
	v_div_scale_f32 v14, vcc, v27, v25, v27
	v_div_fixup_f32 v8, v15, v13, v18
	v_mul_f32_e32 v15, 0x40c00000, v16
	v_mul_f32_e32 v16, v23, v20
	v_fmac_f32_e32 v16, v28, v7
	v_add_f32_e32 v6, v7, v20
	v_mul_f32_e32 v7, v15, v16
	v_div_scale_f32 v15, s[0:1], v22, v22, v7
	v_mov_b32_dpp v21, v11 row_ror:4 row_mask:0xf bank_mask:0xf bound_ctrl:1
	v_add_f32_e32 v5, v5, v12
	v_add_f32_e32 v6, v6, v8
	;; [unrolled: 1-line block ×3, first 2 shown]
	v_div_fixup_f32 v12, v19, v22, v26
	v_add_f32_e32 v8, v8, v12
	v_div_fixup_f32 v12, v24, v13, v31
	v_mul_f32_e32 v17, v17, v21
	v_add_f32_e32 v8, v12, v8
	v_rcp_f32_e32 v12, v29
	v_div_scale_f32 v18, s[0:1], v7, v22, v7
	v_mul_f32_e32 v9, 4.0, v9
	v_fma_f32 v10, v11, v10, -v17
	v_mul_f32_e32 v9, v9, v10
	v_div_scale_f32 v10, s[2:3], v13, v13, v9
	v_fma_f32 v16, -v29, v12, 1.0
	v_fmac_f32_e32 v12, v16, v12
	v_mul_f32_e32 v11, v14, v12
	v_fma_f32 v16, -v29, v11, v14
	v_fmac_f32_e32 v11, v16, v12
	v_div_scale_f32 v16, s[2:3], v9, v13, v9
	v_rcp_f32_e32 v17, v15
	v_fma_f32 v14, -v29, v11, v14
	v_div_fmas_f32 v11, v14, v12, v11
	s_mov_b64 vcc, s[0:1]
	v_fma_f32 v12, -v15, v17, 1.0
	v_fmac_f32_e32 v17, v12, v17
	v_mul_f32_e32 v12, v18, v17
	v_fma_f32 v14, -v15, v12, v18
	v_fmac_f32_e32 v12, v14, v17
	v_rcp_f32_e32 v14, v10
	v_fma_f32 v15, -v15, v12, v18
	v_div_fmas_f32 v12, v15, v17, v12
	s_mov_b64 vcc, s[2:3]
	v_fma_f32 v15, -v10, v14, 1.0
	v_fmac_f32_e32 v14, v15, v14
	v_mul_f32_e32 v15, v16, v14
	v_fma_f32 v17, -v10, v15, v16
	v_fmac_f32_e32 v15, v17, v14
	v_fma_f32 v10, -v10, v15, v16
	v_div_fmas_f32 v10, v10, v14, v15
	v_mov_b32_dpp v15, v5 row_ror:8 row_mask:0xf bank_mask:0xf bound_ctrl:1
	v_mov_b32_dpp v14, v13 row_ror:8 row_mask:0xf bank_mask:0xf bound_ctrl:1
	v_sub_f32_e32 v5, v5, v15
	v_add_f32_e32 v16, v13, v14
	v_mul_f32_e32 v17, v13, v5
	v_div_scale_f32 v18, s[0:1], v16, v16, v17
	v_mul_f32_e32 v19, v5, v5
	v_div_scale_f32 v20, vcc, v17, v16, v17
	v_mul_f32_e32 v21, v19, v14
	v_mul_f32_e32 v21, v13, v21
	v_div_scale_f32 v23, s[0:1], v16, v16, v21
	v_mov_b32_dpp v30, v2 row_ror:4 row_mask:0xf bank_mask:0xf bound_ctrl:1
	v_add_f32_e32 v2, v2, v30
	v_div_fixup_f32 v11, v11, v25, v27
	v_add_f32_e32 v2, v2, v11
	v_div_fixup_f32 v7, v12, v22, v7
	;; [unrolled: 2-line block ×3, first 2 shown]
	v_div_scale_f32 v9, s[0:1], v21, v16, v21
	v_rcp_f32_e32 v10, v18
	v_mul_f32_e32 v11, v5, v19
	v_add_f32_e32 v2, v7, v2
	v_mul_f32_e32 v7, v16, v16
	v_fma_f32 v12, -v18, v10, 1.0
	v_fmac_f32_e32 v10, v12, v10
	v_mul_f32_e32 v12, v20, v10
	v_fma_f32 v24, -v18, v12, v20
	v_fmac_f32_e32 v12, v24, v10
	v_rcp_f32_e32 v24, v23
	v_fma_f32 v18, -v18, v12, v20
	v_div_fmas_f32 v10, v18, v10, v12
	s_mov_b64 vcc, s[0:1]
	v_fma_f32 v12, -v23, v24, 1.0
	v_fmac_f32_e32 v24, v12, v24
	v_mul_f32_e32 v12, v9, v24
	v_fma_f32 v18, -v23, v12, v9
	v_fmac_f32_e32 v12, v18, v24
	v_fma_f32 v9, -v23, v12, v9
	v_div_fmas_f32 v9, v9, v24, v12
	v_mul_f32_e32 v18, v11, v14
	v_mul_f32_e32 v18, v13, v18
	v_sub_f32_e32 v20, v14, v13
	v_mul_f32_e32 v18, v20, v18
	v_div_scale_f32 v20, s[2:3], v7, v7, v18
	v_mov_b32_dpp v12, v4 row_ror:8 row_mask:0xf bank_mask:0xf bound_ctrl:1
	v_mov_b32_dpp v23, v3 row_ror:8 row_mask:0xf bank_mask:0xf bound_ctrl:1
	v_cmp_lt_f32_e32 vcc, v4, v12
	v_cndmask_b32_e32 v4, v12, v4, vcc
	v_cmp_gt_f32_e32 vcc, v3, v23
	v_mov_b32_dpp v24, v6 row_ror:8 row_mask:0xf bank_mask:0xf bound_ctrl:1
	v_cndmask_b32_e32 v3, v23, v3, vcc
	v_div_fixup_f32 v10, v10, v16, v17
	v_div_scale_f32 v17, vcc, v18, v7, v18
	v_mul_f32_e32 v23, v13, v24
	v_div_fixup_f32 v9, v9, v16, v21
	v_mul_f32_e32 v21, 0x40400000, v5
	v_fma_f32 v23, v6, v14, -v23
	v_mul_f32_e32 v21, v21, v23
	v_div_scale_f32 v23, s[0:1], v16, v16, v21
	v_mul_f32_e32 v11, v5, v11
	v_mul_f32_e32 v29, v14, v14
	v_mul_f32_e32 v11, v11, v14
	v_fma_f32 v30, -v13, v14, v29
	v_rcp_f32_e32 v12, v20
	v_div_scale_f32 v28, s[0:1], v21, v16, v21
	v_mul_f32_e32 v11, v13, v11
	v_fmac_f32_e32 v30, v13, v13
	v_mul_f32_e32 v27, v16, v7
	v_mul_f32_e32 v11, v30, v11
	v_div_scale_f32 v30, s[2:3], v27, v27, v11
	v_add_f32_e32 v10, v10, v15
	v_add_f32_e32 v15, v6, v24
	v_add_f32_e32 v9, v15, v9
	v_fma_f32 v15, -v20, v12, 1.0
	v_fmac_f32_e32 v12, v15, v12
	v_mul_f32_e32 v15, v17, v12
	v_fma_f32 v31, -v20, v15, v17
	v_fmac_f32_e32 v15, v31, v12
	v_div_scale_f32 v31, s[2:3], v11, v27, v11
	v_rcp_f32_e32 v32, v23
	v_fma_f32 v17, -v20, v15, v17
	v_div_fmas_f32 v12, v17, v12, v15
	v_mul_f32_e32 v22, v22, v24
	v_fma_f32 v15, -v23, v32, 1.0
	v_fmac_f32_e32 v32, v15, v32
	v_mul_f32_e32 v15, v28, v32
	v_fma_f32 v17, -v23, v15, v28
	v_fmac_f32_e32 v15, v17, v32
	v_rcp_f32_e32 v17, v30
	v_mul_f32_e32 v19, 0x40c00000, v19
	v_fmac_f32_e32 v22, v29, v6
	v_fma_f32 v20, -v23, v15, v28
	s_mov_b64 vcc, s[0:1]
	v_mul_f32_e32 v6, v19, v22
	v_div_fmas_f32 v15, v20, v32, v15
	v_fma_f32 v20, -v30, v17, 1.0
	v_div_scale_f32 v19, s[0:1], v7, v7, v6
	v_fmac_f32_e32 v17, v20, v17
	v_mul_f32_e32 v20, v31, v17
	v_fma_f32 v23, -v30, v20, v31
	v_mov_b32_dpp v25, v8 row_ror:8 row_mask:0xf bank_mask:0xf bound_ctrl:1
	v_fmac_f32_e32 v20, v23, v17
	v_fma_f32 v23, -v30, v20, v31
	s_mov_b64 vcc, s[2:3]
	v_mul_f32_e32 v13, v13, v25
	v_div_fmas_f32 v17, v23, v17, v20
	v_div_scale_f32 v20, vcc, v6, v7, v6
	v_mul_f32_e32 v5, 4.0, v5
	v_fma_f32 v13, v8, v14, -v13
	v_mul_f32_e32 v5, v5, v13
	v_div_scale_f32 v13, s[0:1], v16, v16, v5
	v_div_scale_f32 v14, s[0:1], v5, v16, v5
	v_add_f32_e32 v8, v8, v25
	v_div_fixup_f32 v12, v12, v7, v18
	v_add_f32_e32 v8, v8, v12
	v_div_fixup_f32 v12, v15, v16, v21
	v_rcp_f32_e32 v15, v19
	v_add_f32_e32 v8, v12, v8
	v_div_fixup_f32 v11, v17, v27, v11
	v_mov_b32_dpp v26, v2 row_ror:8 row_mask:0xf bank_mask:0xf bound_ctrl:1
	v_fma_f32 v12, -v19, v15, 1.0
	v_fmac_f32_e32 v15, v12, v15
	v_mul_f32_e32 v12, v20, v15
	v_fma_f32 v17, -v19, v12, v20
	v_fmac_f32_e32 v12, v17, v15
	v_rcp_f32_e32 v17, v13
	v_fma_f32 v18, -v19, v12, v20
	v_div_fmas_f32 v12, v18, v15, v12
	s_mov_b64 vcc, s[0:1]
	v_fma_f32 v15, -v13, v17, 1.0
	v_fmac_f32_e32 v17, v15, v17
	v_mul_f32_e32 v15, v14, v17
	v_fma_f32 v18, -v13, v15, v14
	v_fmac_f32_e32 v15, v18, v17
	v_fma_f32 v13, -v13, v15, v14
	v_div_fmas_f32 v13, v13, v17, v15
	v_mov_b32_dpp v15, v10 row_bcast:15 row_mask:0xf bank_mask:0xf bound_ctrl:1
	v_mov_b32_dpp v14, v16 row_bcast:15 row_mask:0xf bank_mask:0xf bound_ctrl:1
	v_sub_f32_e32 v10, v10, v15
	v_add_f32_e32 v17, v16, v14
	v_mul_f32_e32 v18, v16, v10
	v_div_scale_f32 v19, s[0:1], v17, v17, v18
	v_add_f32_e32 v2, v2, v26
	v_add_f32_e32 v2, v2, v11
	v_mul_f32_e32 v11, v10, v10
	v_div_fixup_f32 v6, v12, v7, v6
	v_div_scale_f32 v12, vcc, v18, v17, v18
	v_mul_f32_e32 v20, v11, v14
	v_mul_f32_e32 v20, v16, v20
	v_div_scale_f32 v21, s[0:1], v17, v17, v20
	v_add_f32_e32 v2, v6, v2
	v_div_scale_f32 v6, s[0:1], v20, v17, v20
	v_div_fixup_f32 v5, v13, v16, v5
	v_rcp_f32_e32 v13, v19
	v_mul_f32_e32 v24, v10, v11
	v_mul_f32_e32 v23, v17, v17
	v_add_f32_e32 v2, v5, v2
	v_fma_f32 v25, -v19, v13, 1.0
	v_fmac_f32_e32 v13, v25, v13
	v_mul_f32_e32 v25, v12, v13
	v_fma_f32 v26, -v19, v25, v12
	v_fmac_f32_e32 v25, v26, v13
	v_fma_f32 v12, -v19, v25, v12
	v_rcp_f32_e32 v26, v21
	v_div_fmas_f32 v12, v12, v13, v25
	s_mov_b64 vcc, s[0:1]
	v_mov_b32_dpp v5, v4 row_bcast:15 row_mask:0xf bank_mask:0xf bound_ctrl:1
	v_fma_f32 v13, -v21, v26, 1.0
	v_fmac_f32_e32 v26, v13, v26
	v_mul_f32_e32 v13, v6, v26
	v_fma_f32 v19, -v21, v13, v6
	v_fmac_f32_e32 v13, v19, v26
	v_fma_f32 v6, -v21, v13, v6
	v_div_fmas_f32 v6, v6, v26, v13
	v_mul_f32_e32 v13, v24, v14
	v_mul_f32_e32 v13, v16, v13
	v_sub_f32_e32 v19, v14, v16
	v_mul_f32_e32 v13, v19, v13
	v_div_scale_f32 v19, s[0:1], v23, v23, v13
	v_mov_b32_dpp v22, v3 row_bcast:15 row_mask:0xf bank_mask:0xf bound_ctrl:1
	v_cmp_lt_f32_e32 vcc, v4, v5
	v_mov_b32_dpp v21, v9 row_bcast:15 row_mask:0xf bank_mask:0xf bound_ctrl:1
	v_cndmask_b32_e32 v4, v5, v4, vcc
	v_cmp_gt_f32_e32 vcc, v3, v22
	v_cndmask_b32_e32 v3, v22, v3, vcc
	v_mul_f32_e32 v22, v16, v21
	v_div_fixup_f32 v5, v12, v17, v18
	v_div_scale_f32 v18, vcc, v13, v23, v13
	v_div_fixup_f32 v6, v6, v17, v20
	v_mul_f32_e32 v20, 0x40400000, v10
	v_fma_f32 v22, v9, v14, -v22
	v_mul_f32_e32 v20, v20, v22
	v_div_scale_f32 v22, s[0:1], v17, v17, v20
	v_div_scale_f32 v28, s[0:1], v20, v17, v20
	v_mul_f32_e32 v24, v10, v24
	v_add_f32_e32 v5, v5, v15
	v_rcp_f32_e32 v15, v19
	v_mul_f32_e32 v29, v14, v14
	v_mul_f32_e32 v24, v24, v14
	v_fma_f32 v30, -v16, v14, v29
	v_mul_f32_e32 v24, v16, v24
	v_fmac_f32_e32 v30, v16, v16
	v_mul_f32_e32 v27, v17, v23
	v_mul_f32_e32 v24, v30, v24
	v_div_scale_f32 v30, s[2:3], v27, v27, v24
	v_fma_f32 v31, -v19, v15, 1.0
	v_fmac_f32_e32 v15, v31, v15
	v_mul_f32_e32 v31, v18, v15
	v_fma_f32 v32, -v19, v31, v18
	v_fmac_f32_e32 v31, v32, v15
	v_rcp_f32_e32 v32, v22
	v_fma_f32 v18, -v19, v31, v18
	v_div_fmas_f32 v15, v18, v15, v31
	v_mul_f32_e32 v7, v7, v21
	v_fma_f32 v18, -v22, v32, 1.0
	v_fmac_f32_e32 v32, v18, v32
	v_mul_f32_e32 v18, v28, v32
	v_fma_f32 v19, -v22, v18, v28
	v_fmac_f32_e32 v18, v19, v32
	v_fma_f32 v19, -v22, v18, v28
	v_div_scale_f32 v28, s[2:3], v24, v27, v24
	v_mul_f32_e32 v11, 0x40c00000, v11
	v_fmac_f32_e32 v7, v29, v9
	v_mul_f32_e32 v7, v11, v7
	v_add_f32_e32 v12, v9, v21
	v_div_scale_f32 v9, s[4:5], v23, v23, v7
	v_rcp_f32_e32 v22, v30
	s_mov_b64 vcc, s[0:1]
	v_div_fmas_f32 v11, v19, v32, v18
	v_mov_b32_dpp v25, v8 row_bcast:15 row_mask:0xf bank_mask:0xf bound_ctrl:1
	v_fma_f32 v18, -v30, v22, 1.0
	v_fmac_f32_e32 v22, v18, v22
	v_div_scale_f32 v18, s[0:1], v7, v23, v7
	v_mul_f32_e32 v16, v16, v25
	v_add_f32_e32 v6, v12, v6
	v_add_f32_e32 v12, v8, v25
	v_mul_f32_e32 v10, 4.0, v10
	v_fma_f32 v8, v8, v14, -v16
	v_mul_f32_e32 v8, v10, v8
	v_div_scale_f32 v10, s[4:5], v17, v17, v8
	v_mul_f32_e32 v14, v28, v22
	v_fma_f32 v16, -v30, v14, v28
	v_fmac_f32_e32 v14, v16, v22
	v_rcp_f32_e32 v16, v9
	v_div_scale_f32 v19, s[4:5], v8, v17, v8
	v_fma_f32 v21, -v30, v14, v28
	s_mov_b64 vcc, s[2:3]
	v_div_fmas_f32 v14, v21, v22, v14
	v_fma_f32 v21, -v9, v16, 1.0
	v_fmac_f32_e32 v16, v21, v16
	v_mul_f32_e32 v21, v18, v16
	v_fma_f32 v22, -v9, v21, v18
	v_fmac_f32_e32 v21, v22, v16
	v_fma_f32 v9, -v9, v21, v18
	s_mov_b64 vcc, s[0:1]
	v_div_fmas_f32 v9, v9, v16, v21
	v_rcp_f32_e32 v18, v10
	v_div_fixup_f32 v13, v15, v23, v13
	s_mov_b64 vcc, s[4:5]
	v_mov_b32_dpp v26, v2 row_bcast:15 row_mask:0xf bank_mask:0xf bound_ctrl:1
	v_fma_f32 v15, -v10, v18, 1.0
	v_fmac_f32_e32 v18, v15, v18
	v_mul_f32_e32 v15, v19, v18
	v_fma_f32 v16, -v10, v15, v19
	v_fmac_f32_e32 v15, v16, v18
	v_fma_f32 v10, -v10, v15, v19
	v_div_fmas_f32 v10, v10, v18, v15
	v_add_f32_e32 v12, v12, v13
	v_div_fixup_f32 v11, v11, v17, v20
	v_add_f32_e32 v11, v11, v12
	v_add_f32_e32 v2, v2, v26
	v_div_fixup_f32 v12, v14, v27, v24
	v_add_f32_e32 v2, v2, v12
	v_div_fixup_f32 v7, v9, v23, v7
	v_mov_b32_dpp v12, v5 row_bcast:31 row_mask:0xf bank_mask:0xf bound_ctrl:1
	v_mov_b32_dpp v9, v17 row_bcast:31 row_mask:0xf bank_mask:0xf bound_ctrl:1
	v_sub_f32_e32 v5, v5, v12
	v_add_f32_e32 v13, v17, v9
	v_mul_f32_e32 v14, v17, v5
	v_div_scale_f32 v15, s[0:1], v13, v13, v14
	v_add_f32_e32 v2, v7, v2
	v_div_fixup_f32 v7, v10, v17, v8
	v_add_f32_e32 v2, v7, v2
	v_mul_f32_e32 v21, v5, v5
	v_mov_b32_dpp v7, v4 row_bcast:31 row_mask:0xf bank_mask:0xf bound_ctrl:1
	v_cmp_lt_f32_e32 vcc, v4, v7
	v_cndmask_b32_e32 v4, v7, v4, vcc
	v_div_scale_f32 v25, vcc, v14, v13, v14
	v_mul_f32_e32 v26, v21, v9
	v_mul_f32_e32 v26, v17, v26
	v_div_scale_f32 v27, s[0:1], v13, v13, v26
	v_mov_b32_dpp v8, v3 row_bcast:31 row_mask:0xf bank_mask:0xf bound_ctrl:1
	v_rcp_f32_e32 v7, v15
	v_cmp_gt_f32_e64 s[0:1], v3, v8
	v_cndmask_b32_e64 v3, v8, v3, s[0:1]
	v_mul_f32_e32 v22, v5, v21
	v_fma_f32 v8, -v15, v7, 1.0
	v_fmac_f32_e32 v7, v8, v7
	v_div_scale_f32 v8, s[0:1], v26, v13, v26
	v_mul_f32_e32 v24, v5, v22
	v_mul_f32_e32 v22, v22, v9
	;; [unrolled: 1-line block ×3, first 2 shown]
	v_sub_f32_e32 v28, v9, v17
	v_mul_f32_e32 v19, v13, v13
	v_mul_f32_e32 v22, v28, v22
	v_div_scale_f32 v28, s[2:3], v19, v19, v22
	v_mul_f32_e32 v29, v25, v7
	v_fma_f32 v30, -v15, v29, v25
	v_fmac_f32_e32 v29, v30, v7
	v_rcp_f32_e32 v30, v27
	v_fma_f32 v15, -v15, v29, v25
	v_div_fmas_f32 v7, v15, v7, v29
	v_mov_b32_dpp v10, v6 row_bcast:31 row_mask:0xf bank_mask:0xf bound_ctrl:1
	v_fma_f32 v15, -v27, v30, 1.0
	v_fmac_f32_e32 v30, v15, v30
	v_mul_f32_e32 v15, v8, v30
	v_fma_f32 v25, -v27, v15, v8
	v_fmac_f32_e32 v15, v25, v30
	v_fma_f32 v8, -v27, v15, v8
	s_mov_b64 vcc, s[0:1]
	v_mul_f32_e32 v29, v17, v10
	v_div_fmas_f32 v8, v8, v30, v15
	v_div_scale_f32 v25, vcc, v22, v19, v22
	v_mul_f32_e32 v27, 0x40400000, v5
	v_fma_f32 v29, v6, v9, -v29
	v_mul_f32_e32 v27, v27, v29
	v_div_scale_f32 v29, s[0:1], v13, v13, v27
	v_rcp_f32_e32 v15, v28
	v_mul_f32_e32 v31, v9, v9
	v_mul_f32_e32 v24, v24, v9
	v_fma_f32 v32, -v17, v9, v31
	v_fma_f32 v30, -v28, v15, 1.0
	v_fmac_f32_e32 v15, v30, v15
	v_div_scale_f32 v30, s[0:1], v27, v13, v27
	v_mul_f32_e32 v24, v17, v24
	v_mul_f32_e32 v33, v25, v15
	v_fma_f32 v34, -v28, v33, v25
	v_fmac_f32_e32 v33, v34, v15
	v_fmac_f32_e32 v32, v17, v17
	v_mul_f32_e32 v20, v13, v19
	v_rcp_f32_e32 v34, v29
	v_mul_f32_e32 v24, v32, v24
	v_fma_f32 v25, -v28, v33, v25
	v_div_scale_f32 v32, s[2:3], v20, v20, v24
	v_div_fmas_f32 v15, v25, v15, v33
	v_fma_f32 v25, -v29, v34, 1.0
	v_fmac_f32_e32 v34, v25, v34
	v_mul_f32_e32 v25, v30, v34
	v_fma_f32 v28, -v29, v25, v30
	v_fmac_f32_e32 v25, v28, v34
	v_fma_f32 v28, -v29, v25, v30
	s_mov_b64 vcc, s[0:1]
	v_div_fmas_f32 v25, v28, v34, v25
	v_div_scale_f32 v29, vcc, v24, v20, v24
	v_mul_f32_e32 v23, v23, v10
	v_mul_f32_e32 v21, 0x40c00000, v21
	v_fmac_f32_e32 v23, v31, v6
	v_mul_f32_e32 v21, v21, v23
	v_div_scale_f32 v23, s[0:1], v19, v19, v21
	v_mov_b32_dpp v16, v11 row_bcast:31 row_mask:0xf bank_mask:0xf bound_ctrl:1
	v_mul_f32_e32 v17, v17, v16
	v_rcp_f32_e32 v28, v32
	v_div_scale_f32 v31, s[0:1], v21, v19, v21
	v_mul_f32_e32 v5, 4.0, v5
	v_fma_f32 v9, v11, v9, -v17
	v_mul_f32_e32 v5, v5, v9
	v_div_scale_f32 v9, s[2:3], v13, v13, v5
	v_fma_f32 v30, -v32, v28, 1.0
	v_fmac_f32_e32 v28, v30, v28
	v_mul_f32_e32 v17, v29, v28
	v_fma_f32 v30, -v32, v17, v29
	v_fmac_f32_e32 v17, v30, v28
	v_div_scale_f32 v30, s[2:3], v5, v13, v5
	v_rcp_f32_e32 v33, v23
	v_fma_f32 v29, -v32, v17, v29
	v_div_fmas_f32 v17, v29, v28, v17
	s_mov_b64 vcc, s[0:1]
	v_fma_f32 v28, -v23, v33, 1.0
	v_fmac_f32_e32 v33, v28, v33
	v_mul_f32_e32 v28, v31, v33
	v_fma_f32 v29, -v23, v28, v31
	v_fmac_f32_e32 v28, v29, v33
	v_rcp_f32_e32 v29, v9
	v_fma_f32 v23, -v23, v28, v31
	v_div_fmas_f32 v23, v23, v33, v28
	s_mov_b64 vcc, s[2:3]
	v_fma_f32 v28, -v9, v29, 1.0
	v_fmac_f32_e32 v29, v28, v29
	v_mul_f32_e32 v28, v30, v29
	v_fma_f32 v31, -v9, v28, v30
	v_fmac_f32_e32 v28, v31, v29
	v_fma_f32 v9, -v9, v28, v30
	v_div_fmas_f32 v9, v9, v29, v28
	v_add_f32_e32 v6, v6, v10
	v_div_fixup_f32 v8, v8, v13, v26
	v_add_f32_e32 v6, v6, v8
	v_add_f32_e32 v8, v11, v16
	v_div_fixup_f32 v10, v15, v19, v22
	v_mov_b32_dpp v18, v2 row_bcast:31 row_mask:0xf bank_mask:0xf bound_ctrl:1
	v_add_f32_e32 v8, v8, v10
	v_div_fixup_f32 v10, v25, v13, v27
	v_div_fixup_f32 v7, v7, v13, v14
	v_add_f32_e32 v14, v10, v8
	v_add_f32_e32 v2, v2, v18
	v_div_fixup_f32 v8, v17, v20, v24
	v_add_f32_e32 v2, v2, v8
	v_div_fixup_f32 v8, v23, v19, v21
	;; [unrolled: 2-line block ×3, first 2 shown]
	v_add_f32_e32 v5, v5, v2
	v_lshlrev_b32_e32 v2, 2, v1
	v_add_f32_e32 v7, v7, v12
	v_or_b32_e32 v15, 0xfc, v2
	ds_bpermute_b32 v8, v15, v13
	ds_bpermute_b32 v9, v15, v4
	;; [unrolled: 1-line block ×7, first 2 shown]
	v_cmp_eq_u32_e32 vcc, 0, v1
	s_and_saveexec_b64 s[0:1], vcc
	s_cbranch_execz .LBB31_16
; %bb.15:
	v_lshrrev_b32_e32 v3, 6, v0
	v_mul_u32_u24_e32 v3, 28, v3
	s_waitcnt lgkmcnt(5)
	ds_write2_b32 v3, v8, v9 offset0:56 offset1:57
	s_waitcnt lgkmcnt(4)
	ds_write2_b32 v3, v10, v11 offset0:58 offset1:59
	s_waitcnt lgkmcnt(3)
	ds_write2_b32 v3, v12, v13 offset0:60 offset1:61
	s_waitcnt lgkmcnt(3)
	ds_write_b32 v3, v14 offset:248
.LBB31_16:
	s_or_b64 exec, exec, s[0:1]
	v_cmp_gt_u32_e32 vcc, 64, v0
	s_waitcnt lgkmcnt(0)
	s_barrier
	s_and_saveexec_b64 s[4:5], vcc
	s_cbranch_execz .LBB31_18
; %bb.17:
	v_and_b32_e32 v9, 3, v1
	v_mul_u32_u24_e32 v10, 28, v9
	ds_read2_b32 v[3:4], v10 offset0:56 offset1:57
	ds_read2_b32 v[5:6], v10 offset0:58 offset1:59
	;; [unrolled: 1-line block ×3, first 2 shown]
	ds_read_b32 v10, v10 offset:248
	v_cmp_ne_u32_e32 vcc, 3, v9
	v_addc_co_u32_e32 v1, vcc, 0, v1, vcc
	v_lshlrev_b32_e32 v1, 2, v1
	s_waitcnt lgkmcnt(2)
	ds_bpermute_b32 v11, v1, v6
	ds_bpermute_b32 v9, v1, v3
	;; [unrolled: 1-line block ×4, first 2 shown]
	s_waitcnt lgkmcnt(5)
	ds_bpermute_b32 v18, v1, v7
	s_waitcnt lgkmcnt(4)
	v_sub_f32_e32 v11, v11, v6
	s_waitcnt lgkmcnt(3)
	v_add_f32_e32 v12, v3, v9
	v_mul_f32_e32 v13, v11, v9
	v_div_scale_f32 v14, s[0:1], v12, v12, v13
	v_div_scale_f32 v16, vcc, v13, v12, v13
	v_mul_f32_e32 v21, v11, v11
	v_mul_f32_e32 v24, v3, v21
	;; [unrolled: 1-line block ×3, first 2 shown]
	v_div_scale_f32 v26, s[0:1], v12, v12, v24
	v_mul_f32_e32 v23, v11, v21
	v_mul_f32_e32 v20, v12, v12
	s_waitcnt lgkmcnt(1)
	v_cmp_lt_f32_e64 s[2:3], v5, v17
	v_cndmask_b32_e64 v5, v5, v17, s[2:3]
	v_mul_f32_e32 v17, 0x40400000, v11
	ds_bpermute_b32 v19, v1, v8
	v_mul_f32_e32 v22, v12, v20
	v_rcp_f32_e32 v25, v14
	v_mul_f32_e32 v21, 0x40c00000, v21
	ds_bpermute_b32 v1, v1, v10
	v_or_b32_e32 v2, 8, v2
	v_fma_f32 v27, -v14, v25, 1.0
	v_fmac_f32_e32 v25, v27, v25
	v_mul_f32_e32 v27, v16, v25
	v_fma_f32 v28, -v14, v27, v16
	v_fmac_f32_e32 v27, v28, v25
	v_fma_f32 v14, -v14, v27, v16
	v_div_fmas_f32 v14, v14, v25, v27
	v_mul_f32_e32 v25, v3, v23
	v_div_scale_f32 v16, vcc, v24, v12, v24
	v_mul_f32_e32 v25, v25, v9
	v_sub_f32_e32 v27, v3, v9
	v_mul_f32_e32 v25, v27, v25
	v_div_scale_f32 v27, s[0:1], v20, v20, v25
	v_cmp_gt_f32_e64 s[0:1], v4, v15
	v_cndmask_b32_e64 v4, v4, v15, s[0:1]
	v_div_scale_f32 v28, s[0:1], v25, v20, v25
	v_rcp_f32_e32 v15, v26
	v_mul_f32_e32 v23, v11, v23
	v_mul_f32_e32 v23, v3, v23
	v_div_fixup_f32 v13, v14, v12, v13
	v_add_f32_e32 v6, v6, v13
	v_fma_f32 v13, -v26, v15, 1.0
	v_fmac_f32_e32 v15, v13, v15
	v_mul_f32_e32 v13, v16, v15
	v_fma_f32 v14, -v26, v13, v16
	v_fmac_f32_e32 v13, v14, v15
	v_rcp_f32_e32 v14, v27
	v_fma_f32 v16, -v26, v13, v16
	v_div_fmas_f32 v13, v16, v15, v13
	v_mul_f32_e32 v26, v7, v9
	v_fma_f32 v15, -v27, v14, 1.0
	v_fmac_f32_e32 v14, v15, v14
	s_waitcnt lgkmcnt(2)
	v_fma_f32 v26, v3, v18, -v26
	v_mul_f32_e32 v15, v28, v14
	v_mul_f32_e32 v17, v17, v26
	v_fma_f32 v16, -v27, v15, v28
	v_div_scale_f32 v26, s[2:3], v12, v12, v17
	v_fmac_f32_e32 v15, v16, v14
	v_fma_f32 v16, -v27, v15, v28
	s_mov_b64 vcc, s[0:1]
	v_div_fmas_f32 v14, v16, v14, v15
	v_div_scale_f32 v16, vcc, v17, v12, v17
	v_add_f32_e32 v15, v7, v18
	v_div_fixup_f32 v13, v13, v12, v24
	v_mul_f32_e32 v27, v3, v3
	v_add_f32_e32 v13, v15, v13
	v_fma_f32 v28, -v3, v9, v27
	v_mul_f32_e32 v23, v23, v9
	v_fmac_f32_e32 v28, v9, v9
	v_mul_f32_e32 v23, v28, v23
	v_rcp_f32_e32 v15, v26
	s_waitcnt lgkmcnt(1)
	v_add_f32_e32 v24, v8, v19
	v_div_scale_f32 v28, s[0:1], v22, v22, v23
	v_mul_f32_e32 v18, v27, v18
	v_div_fixup_f32 v14, v14, v20, v25
	v_add_f32_e32 v14, v24, v14
	v_fma_f32 v24, -v26, v15, 1.0
	v_fmac_f32_e32 v15, v24, v15
	v_mul_f32_e32 v24, v16, v15
	v_fma_f32 v25, -v26, v24, v16
	v_fmac_f32_e32 v24, v25, v15
	v_fma_f32 v16, -v26, v24, v16
	v_div_fmas_f32 v15, v16, v15, v24
	v_div_scale_f32 v25, vcc, v23, v22, v23
	v_mul_f32_e32 v16, v9, v9
	v_fmac_f32_e32 v18, v7, v16
	v_mul_f32_e32 v7, v21, v18
	v_div_scale_f32 v16, s[0:1], v20, v20, v7
	v_mul_f32_e32 v8, v8, v9
	v_rcp_f32_e32 v24, v28
	v_div_scale_f32 v21, s[0:1], v7, v20, v7
	v_mul_f32_e32 v11, 4.0, v11
	v_fma_f32 v3, v3, v19, -v8
	v_mul_f32_e32 v3, v11, v3
	v_div_scale_f32 v8, s[2:3], v12, v12, v3
	v_fma_f32 v18, -v28, v24, 1.0
	v_fmac_f32_e32 v24, v18, v24
	v_mul_f32_e32 v9, v25, v24
	v_fma_f32 v11, -v28, v9, v25
	v_fmac_f32_e32 v9, v11, v24
	v_div_scale_f32 v11, s[2:3], v3, v12, v3
	v_rcp_f32_e32 v18, v16
	v_fma_f32 v19, -v28, v9, v25
	v_div_fmas_f32 v9, v19, v24, v9
	s_mov_b64 vcc, s[0:1]
	v_fma_f32 v19, -v16, v18, 1.0
	v_fmac_f32_e32 v18, v19, v18
	v_mul_f32_e32 v19, v21, v18
	v_fma_f32 v24, -v16, v19, v21
	v_fmac_f32_e32 v19, v24, v18
	v_rcp_f32_e32 v24, v8
	v_fma_f32 v16, -v16, v19, v21
	v_div_fmas_f32 v16, v16, v18, v19
	s_mov_b64 vcc, s[2:3]
	v_fma_f32 v18, -v8, v24, 1.0
	v_fmac_f32_e32 v24, v18, v24
	v_mul_f32_e32 v18, v11, v24
	v_fma_f32 v19, -v8, v18, v11
	v_fmac_f32_e32 v18, v19, v24
	v_fma_f32 v8, -v8, v18, v11
	v_div_fmas_f32 v11, v8, v24, v18
	s_waitcnt lgkmcnt(0)
	v_add_f32_e32 v1, v10, v1
	ds_bpermute_b32 v10, v2, v6
	v_div_fixup_f32 v8, v15, v12, v17
	ds_bpermute_b32 v15, v2, v12
	v_add_f32_e32 v14, v8, v14
	v_div_fixup_f32 v8, v9, v22, v23
	v_add_f32_e32 v1, v1, v8
	v_div_fixup_f32 v7, v16, v20, v7
	s_waitcnt lgkmcnt(1)
	v_sub_f32_e32 v16, v10, v6
	s_waitcnt lgkmcnt(0)
	v_add_f32_e32 v8, v12, v15
	v_mul_f32_e32 v17, v16, v15
	v_div_scale_f32 v18, s[0:1], v8, v8, v17
	v_add_f32_e32 v1, v7, v1
	ds_bpermute_b32 v7, v2, v5
	v_div_fixup_f32 v3, v11, v12, v3
	v_add_f32_e32 v1, v3, v1
	ds_bpermute_b32 v3, v2, v4
	v_mul_f32_e32 v11, v16, v16
	v_mul_f32_e32 v10, v12, v11
	;; [unrolled: 1-line block ×3, first 2 shown]
	v_div_scale_f32 v27, s[0:1], v8, v8, v26
	s_waitcnt lgkmcnt(0)
	v_cmp_gt_f32_e32 vcc, v4, v3
	v_cndmask_b32_e32 v9, v4, v3, vcc
	v_div_scale_f32 v4, vcc, v17, v8, v17
	v_rcp_f32_e32 v3, v18
	v_cmp_lt_f32_e64 s[0:1], v5, v7
	v_cndmask_b32_e64 v10, v5, v7, s[0:1]
	v_mul_f32_e32 v24, v16, v11
	v_fma_f32 v5, -v18, v3, 1.0
	v_fmac_f32_e32 v3, v5, v3
	v_div_scale_f32 v5, s[0:1], v26, v8, v26
	v_mul_f32_e32 v7, v12, v24
	v_mul_f32_e32 v25, v16, v24
	;; [unrolled: 1-line block ×3, first 2 shown]
	v_sub_f32_e32 v24, v12, v15
	v_mul_f32_e32 v22, v8, v8
	v_mul_f32_e32 v7, v24, v7
	;; [unrolled: 1-line block ×3, first 2 shown]
	v_fma_f32 v29, -v18, v28, v4
	v_fmac_f32_e32 v28, v29, v3
	v_rcp_f32_e32 v29, v27
	v_div_scale_f32 v24, s[2:3], v22, v22, v7
	ds_bpermute_b32 v19, v2, v13
	v_fma_f32 v4, -v18, v28, v4
	v_div_fmas_f32 v3, v4, v3, v28
	v_fma_f32 v4, -v27, v29, 1.0
	v_fmac_f32_e32 v29, v4, v29
	v_mul_f32_e32 v18, v5, v29
	v_fma_f32 v28, -v27, v18, v5
	v_mul_f32_e32 v30, v13, v15
	v_div_scale_f32 v4, s[2:3], v7, v22, v7
	v_fmac_f32_e32 v18, v28, v29
	v_mul_f32_e32 v28, 0x40400000, v16
	s_waitcnt lgkmcnt(0)
	v_fma_f32 v30, v12, v19, -v30
	v_mul_f32_e32 v28, v28, v30
	v_div_scale_f32 v30, s[8:9], v8, v8, v28
	v_fma_f32 v5, -v27, v18, v5
	s_mov_b64 vcc, s[0:1]
	v_div_fmas_f32 v5, v5, v29, v18
	v_div_scale_f32 v29, s[0:1], v28, v8, v28
	v_rcp_f32_e32 v27, v24
	v_mul_f32_e32 v25, v12, v25
	v_fma_f32 v31, -v12, v15, v20
	v_mul_f32_e32 v25, v25, v15
	v_fma_f32 v18, -v24, v27, 1.0
	v_fmac_f32_e32 v27, v18, v27
	v_mul_f32_e32 v18, v4, v27
	v_fma_f32 v32, -v24, v18, v4
	v_fmac_f32_e32 v18, v32, v27
	v_rcp_f32_e32 v32, v30
	v_fmac_f32_e32 v31, v15, v15
	v_mul_f32_e32 v23, v8, v22
	v_mul_f32_e32 v25, v31, v25
	v_fma_f32 v4, -v24, v18, v4
	s_mov_b64 vcc, s[2:3]
	v_div_scale_f32 v31, s[8:9], v23, v23, v25
	v_div_fmas_f32 v4, v4, v27, v18
	v_fma_f32 v18, -v30, v32, 1.0
	v_fmac_f32_e32 v32, v18, v32
	v_mul_f32_e32 v18, v29, v32
	v_fma_f32 v24, -v30, v18, v29
	v_fmac_f32_e32 v18, v24, v32
	v_fma_f32 v24, -v30, v18, v29
	s_mov_b64 vcc, s[0:1]
	v_div_fmas_f32 v18, v24, v32, v18
	v_div_scale_f32 v29, vcc, v25, v23, v25
	v_mul_f32_e32 v24, v15, v15
	v_mul_f32_e32 v20, v20, v19
	;; [unrolled: 1-line block ×3, first 2 shown]
	v_fmac_f32_e32 v20, v24, v13
	v_mul_f32_e32 v20, v11, v20
	v_div_scale_f32 v11, s[0:1], v22, v22, v20
	ds_bpermute_b32 v21, v2, v14
	v_mul_f32_e32 v15, v14, v15
	v_rcp_f32_e32 v27, v31
	v_div_scale_f32 v30, s[0:1], v20, v22, v20
	v_mul_f32_e32 v16, 4.0, v16
	s_waitcnt lgkmcnt(0)
	v_fma_f32 v12, v12, v21, -v15
	v_mul_f32_e32 v15, v16, v12
	v_div_scale_f32 v12, s[2:3], v8, v8, v15
	v_fma_f32 v24, -v31, v27, 1.0
	v_fmac_f32_e32 v27, v24, v27
	v_mul_f32_e32 v16, v29, v27
	v_fma_f32 v24, -v31, v16, v29
	v_fmac_f32_e32 v16, v24, v27
	v_div_scale_f32 v24, s[2:3], v15, v8, v15
	v_rcp_f32_e32 v32, v11
	v_fma_f32 v29, -v31, v16, v29
	v_div_fmas_f32 v16, v29, v27, v16
	s_mov_b64 vcc, s[0:1]
	v_fma_f32 v27, -v11, v32, 1.0
	v_fmac_f32_e32 v32, v27, v32
	v_mul_f32_e32 v27, v30, v32
	v_fma_f32 v29, -v11, v27, v30
	v_fmac_f32_e32 v27, v29, v32
	v_rcp_f32_e32 v29, v12
	v_fma_f32 v11, -v11, v27, v30
	v_div_fmas_f32 v27, v11, v32, v27
	s_mov_b64 vcc, s[2:3]
	v_fma_f32 v11, -v12, v29, 1.0
	v_fmac_f32_e32 v29, v11, v29
	v_mul_f32_e32 v11, v24, v29
	v_fma_f32 v30, -v12, v11, v24
	v_fmac_f32_e32 v11, v30, v29
	v_fma_f32 v12, -v12, v11, v24
	v_div_fmas_f32 v24, v12, v29, v11
	ds_bpermute_b32 v2, v2, v1
	v_div_fixup_f32 v3, v3, v8, v17
	v_add_f32_e32 v11, v6, v3
	v_add_f32_e32 v3, v13, v19
	v_div_fixup_f32 v5, v5, v8, v26
	s_waitcnt lgkmcnt(0)
	v_add_f32_e32 v1, v1, v2
	v_div_fixup_f32 v2, v16, v23, v25
	v_add_f32_e32 v12, v3, v5
	v_add_f32_e32 v3, v14, v21
	v_div_fixup_f32 v4, v4, v22, v7
	v_add_f32_e32 v1, v1, v2
	v_div_fixup_f32 v2, v27, v22, v20
	;; [unrolled: 2-line block ×4, first 2 shown]
	v_add_f32_e32 v13, v4, v3
	v_add_f32_e32 v14, v2, v1
.LBB31_18:
	s_or_b64 exec, exec, s[4:5]
	s_branch .LBB31_86
.LBB31_19:
                                        ; implicit-def: $vgpr7
                                        ; implicit-def: $vgpr4
	s_branch .LBB31_99
.LBB31_20:
                                        ; implicit-def: $vgpr14
                                        ; implicit-def: $vgpr13
                                        ; implicit-def: $vgpr8
                                        ; implicit-def: $vgpr10
	s_cbranch_execz .LBB31_54
; %bb.21:
	s_sub_i32 s27, s16, s30
	v_cmp_gt_u32_e32 vcc, s27, v0
                                        ; implicit-def: $vgpr11
	s_and_saveexec_b64 s[0:1], vcc
	s_cbranch_execz .LBB31_23
; %bb.22:
	v_lshlrev_b32_e32 v1, 2, v0
	global_load_dword v11, v1, s[28:29]
.LBB31_23:
	s_or_b64 exec, exec, s[0:1]
	v_or_b32_e32 v1, 0x100, v0
	v_cmp_gt_u32_e64 s[2:3], s27, v1
                                        ; implicit-def: $vgpr3
	s_and_saveexec_b64 s[0:1], s[2:3]
	s_cbranch_execz .LBB31_25
; %bb.24:
	v_lshlrev_b32_e32 v1, 2, v0
	global_load_dword v3, v1, s[28:29] offset:1024
.LBB31_25:
	s_or_b64 exec, exec, s[0:1]
	v_or_b32_e32 v1, 0x200, v0
	v_cmp_gt_u32_e32 vcc, s27, v1
                                        ; implicit-def: $vgpr2
	s_and_saveexec_b64 s[0:1], vcc
	s_cbranch_execz .LBB31_27
; %bb.26:
	v_lshlrev_b32_e32 v1, 2, v0
	global_load_dword v2, v1, s[28:29] offset:2048
.LBB31_27:
	s_or_b64 exec, exec, s[0:1]
	v_or_b32_e32 v1, 0x300, v0
	v_cmp_gt_u32_e64 s[0:1], s27, v1
                                        ; implicit-def: $vgpr1
	s_and_saveexec_b64 s[4:5], s[0:1]
	s_cbranch_execz .LBB31_29
; %bb.28:
	v_lshlrev_b32_e32 v1, 2, v0
	global_load_dword v1, v1, s[28:29] offset:3072
.LBB31_29:
	s_or_b64 exec, exec, s[4:5]
	v_mov_b32_e32 v8, 1.0
	v_mov_b32_e32 v12, 0
	s_waitcnt vmcnt(0)
	v_mov_b32_e32 v10, v11
	v_mov_b32_e32 v9, v11
	;; [unrolled: 1-line block ×4, first 2 shown]
	s_and_saveexec_b64 s[4:5], s[2:3]
	s_cbranch_execnz .LBB31_131
; %bb.30:
	s_or_b64 exec, exec, s[4:5]
	s_and_saveexec_b64 s[10:11], vcc
	s_cbranch_execnz .LBB31_132
.LBB31_31:
	s_or_b64 exec, exec, s[10:11]
	s_and_saveexec_b64 s[8:9], s[0:1]
	s_cbranch_execz .LBB31_33
.LBB31_32:
	v_add_f32_e32 v2, 1.0, v8
	v_sub_f32_e32 v3, v1, v11
	v_div_scale_f32 v4, s[0:1], v2, v2, v3
	v_cmp_lt_f32_e32 vcc, v1, v9
	v_cndmask_b32_e32 v9, v9, v1, vcc
	v_div_scale_f32 v15, vcc, v3, v2, v3
	v_mul_f32_e32 v7, v3, v3
	v_mul_f32_e32 v17, v7, v8
	v_div_scale_f32 v18, s[0:1], v2, v2, v17
	v_div_scale_f32 v22, s[0:1], v17, v2, v17
	v_mul_f32_e32 v19, v3, v7
	v_add_f32_e32 v5, -1.0, v8
	v_mul_f32_e32 v20, v3, v19
	v_mul_f32_e32 v19, v8, v19
	v_rcp_f32_e32 v21, v4
	v_mul_f32_e32 v6, v2, v2
	v_mul_f32_e32 v5, v5, v19
	v_div_scale_f32 v19, s[2:3], v6, v6, v5
	v_fma_f32 v23, -v4, v21, 1.0
	v_fmac_f32_e32 v21, v23, v21
	v_mul_f32_e32 v23, v15, v21
	v_fma_f32 v24, -v4, v23, v15
	v_fmac_f32_e32 v23, v24, v21
	v_fma_f32 v4, -v4, v23, v15
	v_rcp_f32_e32 v15, v18
	v_div_fmas_f32 v4, v4, v21, v23
	v_mul_f32_e32 v25, 0x40400000, v3
	v_fma_f32 v26, v8, 0, -v12
	v_fma_f32 v23, -v18, v15, 1.0
	v_fmac_f32_e32 v15, v23, v15
	v_mul_f32_e32 v23, v22, v15
	v_fma_f32 v24, -v18, v23, v22
	v_fmac_f32_e32 v23, v24, v15
	v_div_scale_f32 v24, s[2:3], v5, v6, v5
	v_mul_f32_e32 v25, v25, v26
	v_div_scale_f32 v26, s[4:5], v2, v2, v25
	v_fma_f32 v18, -v18, v23, v22
	s_mov_b64 vcc, s[0:1]
	v_div_fmas_f32 v15, v18, v15, v23
	v_div_scale_f32 v23, s[0:1], v25, v2, v25
	v_rcp_f32_e32 v22, v19
	v_fma_f32 v27, v8, v8, -v8
	v_mul_f32_e32 v20, v8, v20
	v_add_f32_e32 v27, 1.0, v27
	v_fma_f32 v18, -v19, v22, 1.0
	v_fmac_f32_e32 v22, v18, v22
	v_mul_f32_e32 v18, v24, v22
	v_fma_f32 v28, -v19, v18, v24
	v_fmac_f32_e32 v18, v28, v22
	v_rcp_f32_e32 v28, v26
	v_mul_f32_e32 v16, v2, v6
	v_mul_f32_e32 v20, v20, v27
	v_div_scale_f32 v27, s[4:5], v16, v16, v20
	v_fma_f32 v19, -v19, v18, v24
	s_mov_b64 vcc, s[2:3]
	v_div_fmas_f32 v18, v19, v22, v18
	v_fma_f32 v19, -v26, v28, 1.0
	v_fmac_f32_e32 v28, v19, v28
	v_mul_f32_e32 v19, v23, v28
	v_fma_f32 v22, -v26, v19, v23
	v_fmac_f32_e32 v19, v22, v28
	v_fma_f32 v22, -v26, v19, v23
	v_div_scale_f32 v26, s[2:3], v20, v16, v20
	v_mul_f32_e32 v23, v8, v8
	v_add_f32_e32 v21, 0, v12
	v_mul_f32_e32 v7, 0x40c00000, v7
	v_fmac_f32_e32 v12, 0, v23
	v_mul_f32_e32 v7, v7, v12
	v_div_scale_f32 v12, s[4:5], v6, v6, v7
	s_mov_b64 vcc, s[0:1]
	v_rcp_f32_e32 v24, v27
	v_div_fmas_f32 v19, v22, v28, v19
	v_div_scale_f32 v23, s[0:1], v7, v6, v7
	v_mul_f32_e32 v28, 4.0, v3
	v_fma_f32 v8, v8, 0, -v13
	v_mul_f32_e32 v8, v28, v8
	v_div_scale_f32 v28, s[4:5], v2, v2, v8
	v_fma_f32 v22, -v27, v24, 1.0
	v_fmac_f32_e32 v24, v22, v24
	v_mul_f32_e32 v22, v26, v24
	v_fma_f32 v29, -v27, v22, v26
	v_fmac_f32_e32 v22, v29, v24
	v_div_scale_f32 v29, s[4:5], v8, v2, v8
	v_rcp_f32_e32 v30, v12
	v_fma_f32 v26, -v27, v22, v26
	s_mov_b64 vcc, s[2:3]
	v_div_fmas_f32 v22, v26, v24, v22
	v_fma_f32 v24, -v12, v30, 1.0
	v_fmac_f32_e32 v30, v24, v30
	v_mul_f32_e32 v24, v23, v30
	v_fma_f32 v26, -v12, v24, v23
	v_fmac_f32_e32 v24, v26, v30
	v_rcp_f32_e32 v26, v28
	v_fma_f32 v12, -v12, v24, v23
	s_mov_b64 vcc, s[0:1]
	v_div_fmas_f32 v12, v12, v30, v24
	v_fma_f32 v23, -v28, v26, 1.0
	v_fmac_f32_e32 v26, v23, v26
	v_mul_f32_e32 v23, v29, v26
	v_fma_f32 v24, -v28, v23, v29
	v_fmac_f32_e32 v23, v24, v26
	v_fma_f32 v24, -v28, v23, v29
	s_mov_b64 vcc, s[4:5]
	v_div_fmas_f32 v23, v24, v26, v23
	v_cmp_lt_f32_e32 vcc, v10, v1
	v_cndmask_b32_e32 v10, v10, v1, vcc
	v_div_fixup_f32 v1, v4, v2, v3
	v_add_f32_e32 v3, 0, v13
	v_div_fixup_f32 v4, v18, v6, v5
	v_add_f32_e32 v3, v3, v4
	;; [unrolled: 2-line block ×3, first 2 shown]
	v_add_f32_e32 v4, 0, v14
	v_div_fixup_f32 v5, v22, v16, v20
	v_add_f32_e32 v11, v11, v1
	v_div_fixup_f32 v1, v15, v2, v17
	;; [unrolled: 2-line block ×3, first 2 shown]
	v_add_f32_e32 v1, v21, v1
	v_add_f32_e32 v4, v5, v4
	v_div_fixup_f32 v5, v23, v2, v8
	v_add_f32_e32 v14, v5, v4
	v_mov_b32_e32 v12, v1
	v_mov_b32_e32 v8, v2
.LBB31_33:
	s_or_b64 exec, exec, s[8:9]
	v_mbcnt_lo_u32_b32 v1, -1, 0
	v_mbcnt_hi_u32_b32 v1, -1, v1
	v_and_b32_e32 v2, 63, v1
	v_cmp_ne_u32_e32 vcc, 63, v2
	v_addc_co_u32_e32 v3, vcc, 0, v1, vcc
	v_lshlrev_b32_e32 v3, 2, v3
	ds_bpermute_b32 v7, v3, v8
	ds_bpermute_b32 v16, v3, v9
	;; [unrolled: 1-line block ×7, first 2 shown]
	s_min_u32 s8, s27, 0x100
	v_and_b32_e32 v3, 0xc0, v0
	v_sub_u32_e64 v3, s8, v3 clamp
	v_add_u32_e32 v18, 1, v2
	v_cmp_lt_u32_e32 vcc, v18, v3
	s_and_saveexec_b64 s[0:1], vcc
	s_xor_b64 s[4:5], exec, s[0:1]
	s_cbranch_execz .LBB31_35
; %bb.34:
	s_waitcnt lgkmcnt(3)
	v_sub_f32_e32 v17, v17, v11
	v_add_f32_e32 v18, v8, v7
	v_mul_f32_e32 v19, v17, v7
	v_div_scale_f32 v20, s[0:1], v18, v18, v19
	v_cmp_gt_f32_e64 s[0:1], v9, v16
	v_cndmask_b32_e64 v9, v9, v16, s[0:1]
	v_mul_f32_e32 v16, v17, v17
	v_div_scale_f32 v21, vcc, v19, v18, v19
	v_mul_f32_e32 v23, v8, v16
	v_cmp_lt_f32_e64 s[0:1], v10, v15
	v_mul_f32_e32 v23, v23, v7
	v_cndmask_b32_e64 v10, v10, v15, s[0:1]
	v_div_scale_f32 v25, s[0:1], v18, v18, v23
	v_div_scale_f32 v30, s[0:1], v23, v18, v23
	v_mul_f32_e32 v26, v17, v16
	v_rcp_f32_e32 v24, v20
	v_mul_f32_e32 v27, v17, v26
	v_mul_f32_e32 v26, v8, v26
	;; [unrolled: 1-line block ×3, first 2 shown]
	v_fma_f32 v28, -v20, v24, 1.0
	v_fmac_f32_e32 v24, v28, v24
	v_mul_f32_e32 v28, v21, v24
	v_fma_f32 v29, -v20, v28, v21
	v_fmac_f32_e32 v28, v29, v24
	v_sub_f32_e32 v31, v8, v7
	v_mul_f32_e32 v15, v18, v18
	v_rcp_f32_e32 v29, v25
	v_mul_f32_e32 v26, v31, v26
	v_fma_f32 v20, -v20, v28, v21
	v_div_scale_f32 v31, s[2:3], v15, v15, v26
	v_fma_f32 v21, -v25, v29, 1.0
	v_fmac_f32_e32 v29, v21, v29
	v_div_fmas_f32 v20, v20, v24, v28
	v_mul_f32_e32 v24, v30, v29
	v_fma_f32 v28, -v25, v24, v30
	v_fmac_f32_e32 v24, v28, v29
	v_fma_f32 v25, -v25, v24, v30
	s_mov_b64 vcc, s[0:1]
	v_div_fmas_f32 v24, v25, v29, v24
	v_mul_f32_e32 v29, v12, v7
	v_div_scale_f32 v21, s[2:3], v26, v15, v26
	v_mul_f32_e32 v28, 0x40400000, v17
	s_waitcnt lgkmcnt(2)
	v_fma_f32 v29, v8, v6, -v29
	v_mul_f32_e32 v28, v28, v29
	v_div_scale_f32 v29, s[0:1], v18, v18, v28
	v_div_scale_f32 v32, s[0:1], v28, v18, v28
	v_rcp_f32_e32 v25, v31
	v_mul_f32_e32 v33, v8, v8
	v_mul_f32_e32 v27, v8, v27
	v_fma_f32 v34, -v8, v7, v33
	v_fma_f32 v30, -v31, v25, 1.0
	v_fmac_f32_e32 v25, v30, v25
	v_mul_f32_e32 v27, v27, v7
	v_mul_f32_e32 v30, v21, v25
	v_fma_f32 v35, -v31, v30, v21
	v_fmac_f32_e32 v30, v35, v25
	v_fmac_f32_e32 v34, v7, v7
	v_mul_f32_e32 v22, v18, v15
	v_rcp_f32_e32 v35, v29
	v_mul_f32_e32 v27, v34, v27
	v_fma_f32 v21, -v31, v30, v21
	s_mov_b64 vcc, s[2:3]
	v_div_scale_f32 v34, s[10:11], v22, v22, v27
	v_div_fmas_f32 v21, v21, v25, v30
	v_fma_f32 v25, -v29, v35, 1.0
	v_fmac_f32_e32 v35, v25, v35
	v_mul_f32_e32 v25, v32, v35
	v_fma_f32 v30, -v29, v25, v32
	v_fmac_f32_e32 v25, v30, v35
	v_fma_f32 v29, -v29, v25, v32
	s_mov_b64 vcc, s[0:1]
	v_div_fmas_f32 v25, v29, v35, v25
	v_div_scale_f32 v31, vcc, v27, v22, v27
	v_mul_f32_e32 v29, v7, v7
	v_mul_f32_e32 v32, v33, v6
	;; [unrolled: 1-line block ×3, first 2 shown]
	v_fmac_f32_e32 v32, v12, v29
	v_mul_f32_e32 v16, v16, v32
	v_div_scale_f32 v29, s[0:1], v15, v15, v16
	v_mul_f32_e32 v7, v13, v7
	v_rcp_f32_e32 v30, v34
	v_div_scale_f32 v33, s[0:1], v16, v15, v16
	v_mul_f32_e32 v17, 4.0, v17
	s_waitcnt lgkmcnt(1)
	v_fma_f32 v7, v8, v5, -v7
	v_mul_f32_e32 v7, v17, v7
	v_div_scale_f32 v8, s[2:3], v18, v18, v7
	v_fma_f32 v32, -v34, v30, 1.0
	v_fmac_f32_e32 v30, v32, v30
	v_mul_f32_e32 v17, v31, v30
	v_fma_f32 v32, -v34, v17, v31
	v_fmac_f32_e32 v17, v32, v30
	v_div_scale_f32 v32, s[2:3], v7, v18, v7
	v_rcp_f32_e32 v35, v29
	v_fma_f32 v31, -v34, v17, v31
	v_div_fmas_f32 v17, v31, v30, v17
	s_mov_b64 vcc, s[0:1]
	v_fma_f32 v30, -v29, v35, 1.0
	v_fmac_f32_e32 v35, v30, v35
	v_mul_f32_e32 v30, v33, v35
	v_fma_f32 v31, -v29, v30, v33
	v_fmac_f32_e32 v30, v31, v35
	v_rcp_f32_e32 v31, v8
	v_fma_f32 v29, -v29, v30, v33
	v_div_fmas_f32 v29, v29, v35, v30
	s_mov_b64 vcc, s[2:3]
	v_fma_f32 v30, -v8, v31, 1.0
	v_fmac_f32_e32 v31, v30, v31
	v_mul_f32_e32 v30, v32, v31
	v_fma_f32 v33, -v8, v30, v32
	v_fmac_f32_e32 v30, v33, v31
	v_fma_f32 v8, -v8, v30, v32
	v_div_fmas_f32 v8, v8, v31, v30
	v_add_f32_e32 v6, v12, v6
	v_div_fixup_f32 v12, v24, v18, v23
	v_add_f32_e32 v6, v6, v12
	v_add_f32_e32 v5, v13, v5
	v_div_fixup_f32 v12, v21, v15, v26
	v_add_f32_e32 v5, v5, v12
	v_div_fixup_f32 v12, v25, v18, v28
	v_add_f32_e32 v13, v12, v5
	s_waitcnt lgkmcnt(0)
	v_add_f32_e32 v4, v14, v4
	v_div_fixup_f32 v12, v17, v22, v27
	v_add_f32_e32 v4, v4, v12
	v_div_fixup_f32 v12, v29, v15, v16
	v_div_fixup_f32 v19, v20, v18, v19
	v_add_f32_e32 v4, v12, v4
	v_add_f32_e32 v11, v11, v19
	v_div_fixup_f32 v7, v8, v18, v7
	v_add_f32_e32 v14, v7, v4
	v_mov_b32_e32 v12, v6
	v_mov_b32_e32 v8, v18
.LBB31_35:
	s_or_b64 exec, exec, s[4:5]
	v_cmp_gt_u32_e32 vcc, 62, v2
	s_waitcnt lgkmcnt(0)
	v_cndmask_b32_e64 v4, 0, 2, vcc
	v_add_lshl_u32 v4, v4, v1, 2
	ds_bpermute_b32 v7, v4, v8
	ds_bpermute_b32 v16, v4, v9
	;; [unrolled: 1-line block ×7, first 2 shown]
	v_add_u32_e32 v18, 2, v2
	v_cmp_lt_u32_e32 vcc, v18, v3
	s_and_saveexec_b64 s[4:5], vcc
	s_cbranch_execz .LBB31_37
; %bb.36:
	s_waitcnt lgkmcnt(3)
	v_sub_f32_e32 v17, v17, v11
	v_add_f32_e32 v18, v8, v7
	v_mul_f32_e32 v19, v17, v7
	v_div_scale_f32 v20, s[0:1], v18, v18, v19
	v_cmp_gt_f32_e64 s[0:1], v9, v16
	v_cndmask_b32_e64 v9, v9, v16, s[0:1]
	v_mul_f32_e32 v16, v17, v17
	v_div_scale_f32 v21, vcc, v19, v18, v19
	v_mul_f32_e32 v23, v8, v16
	v_cmp_lt_f32_e64 s[0:1], v10, v15
	v_mul_f32_e32 v23, v23, v7
	v_cndmask_b32_e64 v10, v10, v15, s[0:1]
	v_div_scale_f32 v25, s[0:1], v18, v18, v23
	v_div_scale_f32 v30, s[0:1], v23, v18, v23
	v_mul_f32_e32 v26, v17, v16
	v_rcp_f32_e32 v24, v20
	v_mul_f32_e32 v27, v17, v26
	v_mul_f32_e32 v26, v8, v26
	;; [unrolled: 1-line block ×3, first 2 shown]
	v_fma_f32 v28, -v20, v24, 1.0
	v_fmac_f32_e32 v24, v28, v24
	v_mul_f32_e32 v28, v21, v24
	v_fma_f32 v29, -v20, v28, v21
	v_fmac_f32_e32 v28, v29, v24
	v_sub_f32_e32 v31, v8, v7
	v_mul_f32_e32 v15, v18, v18
	v_rcp_f32_e32 v29, v25
	v_mul_f32_e32 v26, v31, v26
	v_fma_f32 v20, -v20, v28, v21
	v_div_scale_f32 v31, s[2:3], v15, v15, v26
	v_fma_f32 v21, -v25, v29, 1.0
	v_fmac_f32_e32 v29, v21, v29
	v_div_fmas_f32 v20, v20, v24, v28
	v_mul_f32_e32 v24, v30, v29
	v_fma_f32 v28, -v25, v24, v30
	v_fmac_f32_e32 v24, v28, v29
	v_fma_f32 v25, -v25, v24, v30
	s_mov_b64 vcc, s[0:1]
	v_div_fmas_f32 v24, v25, v29, v24
	v_mul_f32_e32 v29, v12, v7
	v_div_scale_f32 v21, s[2:3], v26, v15, v26
	v_mul_f32_e32 v28, 0x40400000, v17
	s_waitcnt lgkmcnt(2)
	v_fma_f32 v29, v8, v6, -v29
	v_mul_f32_e32 v28, v28, v29
	v_div_scale_f32 v29, s[0:1], v18, v18, v28
	v_div_scale_f32 v32, s[0:1], v28, v18, v28
	v_rcp_f32_e32 v25, v31
	v_mul_f32_e32 v33, v8, v8
	v_mul_f32_e32 v27, v8, v27
	v_fma_f32 v34, -v8, v7, v33
	v_fma_f32 v30, -v31, v25, 1.0
	v_fmac_f32_e32 v25, v30, v25
	v_mul_f32_e32 v27, v27, v7
	v_mul_f32_e32 v30, v21, v25
	v_fma_f32 v35, -v31, v30, v21
	v_fmac_f32_e32 v30, v35, v25
	v_fmac_f32_e32 v34, v7, v7
	v_mul_f32_e32 v22, v18, v15
	v_rcp_f32_e32 v35, v29
	v_mul_f32_e32 v27, v34, v27
	v_fma_f32 v21, -v31, v30, v21
	s_mov_b64 vcc, s[2:3]
	v_div_scale_f32 v34, s[10:11], v22, v22, v27
	v_div_fmas_f32 v21, v21, v25, v30
	v_fma_f32 v25, -v29, v35, 1.0
	v_fmac_f32_e32 v35, v25, v35
	v_mul_f32_e32 v25, v32, v35
	v_fma_f32 v30, -v29, v25, v32
	v_fmac_f32_e32 v25, v30, v35
	v_fma_f32 v29, -v29, v25, v32
	s_mov_b64 vcc, s[0:1]
	v_div_fmas_f32 v25, v29, v35, v25
	v_div_scale_f32 v31, vcc, v27, v22, v27
	v_mul_f32_e32 v29, v7, v7
	v_mul_f32_e32 v32, v33, v6
	v_mul_f32_e32 v16, 0x40c00000, v16
	v_fmac_f32_e32 v32, v12, v29
	v_mul_f32_e32 v16, v16, v32
	v_div_scale_f32 v29, s[0:1], v15, v15, v16
	v_mul_f32_e32 v7, v13, v7
	v_rcp_f32_e32 v30, v34
	v_div_scale_f32 v33, s[0:1], v16, v15, v16
	v_mul_f32_e32 v17, 4.0, v17
	s_waitcnt lgkmcnt(1)
	v_fma_f32 v7, v8, v5, -v7
	v_mul_f32_e32 v7, v17, v7
	v_div_scale_f32 v8, s[2:3], v18, v18, v7
	v_fma_f32 v32, -v34, v30, 1.0
	v_fmac_f32_e32 v30, v32, v30
	v_mul_f32_e32 v17, v31, v30
	v_fma_f32 v32, -v34, v17, v31
	v_fmac_f32_e32 v17, v32, v30
	v_div_scale_f32 v32, s[2:3], v7, v18, v7
	v_rcp_f32_e32 v35, v29
	v_fma_f32 v31, -v34, v17, v31
	v_div_fmas_f32 v17, v31, v30, v17
	s_mov_b64 vcc, s[0:1]
	v_fma_f32 v30, -v29, v35, 1.0
	v_fmac_f32_e32 v35, v30, v35
	v_mul_f32_e32 v30, v33, v35
	v_fma_f32 v31, -v29, v30, v33
	v_fmac_f32_e32 v30, v31, v35
	v_rcp_f32_e32 v31, v8
	v_fma_f32 v29, -v29, v30, v33
	v_div_fmas_f32 v29, v29, v35, v30
	s_mov_b64 vcc, s[2:3]
	v_fma_f32 v30, -v8, v31, 1.0
	v_fmac_f32_e32 v31, v30, v31
	v_mul_f32_e32 v30, v32, v31
	v_fma_f32 v33, -v8, v30, v32
	v_fmac_f32_e32 v30, v33, v31
	v_fma_f32 v8, -v8, v30, v32
	v_div_fmas_f32 v8, v8, v31, v30
	v_add_f32_e32 v6, v12, v6
	v_div_fixup_f32 v12, v24, v18, v23
	v_add_f32_e32 v6, v6, v12
	v_add_f32_e32 v5, v13, v5
	v_div_fixup_f32 v12, v21, v15, v26
	v_add_f32_e32 v5, v5, v12
	v_div_fixup_f32 v12, v25, v18, v28
	v_add_f32_e32 v13, v12, v5
	s_waitcnt lgkmcnt(0)
	v_add_f32_e32 v4, v14, v4
	v_div_fixup_f32 v12, v17, v22, v27
	v_add_f32_e32 v4, v4, v12
	v_div_fixup_f32 v12, v29, v15, v16
	v_div_fixup_f32 v19, v20, v18, v19
	v_add_f32_e32 v4, v12, v4
	v_add_f32_e32 v11, v11, v19
	v_div_fixup_f32 v7, v8, v18, v7
	v_add_f32_e32 v14, v7, v4
	v_mov_b32_e32 v12, v6
	v_mov_b32_e32 v8, v18
.LBB31_37:
	s_or_b64 exec, exec, s[4:5]
	v_cmp_gt_u32_e32 vcc, 60, v2
	s_waitcnt lgkmcnt(0)
	v_cndmask_b32_e64 v4, 0, 4, vcc
	v_add_lshl_u32 v4, v4, v1, 2
	ds_bpermute_b32 v7, v4, v8
	ds_bpermute_b32 v16, v4, v9
	;; [unrolled: 1-line block ×7, first 2 shown]
	v_add_u32_e32 v18, 4, v2
	v_cmp_lt_u32_e32 vcc, v18, v3
	s_and_saveexec_b64 s[4:5], vcc
	s_cbranch_execz .LBB31_39
; %bb.38:
	s_waitcnt lgkmcnt(3)
	v_sub_f32_e32 v17, v17, v11
	v_add_f32_e32 v18, v8, v7
	v_mul_f32_e32 v19, v17, v7
	v_div_scale_f32 v20, s[0:1], v18, v18, v19
	v_cmp_gt_f32_e64 s[0:1], v9, v16
	v_cndmask_b32_e64 v9, v9, v16, s[0:1]
	v_mul_f32_e32 v16, v17, v17
	v_div_scale_f32 v21, vcc, v19, v18, v19
	v_mul_f32_e32 v23, v8, v16
	v_cmp_lt_f32_e64 s[0:1], v10, v15
	v_mul_f32_e32 v23, v23, v7
	v_cndmask_b32_e64 v10, v10, v15, s[0:1]
	v_div_scale_f32 v25, s[0:1], v18, v18, v23
	v_div_scale_f32 v30, s[0:1], v23, v18, v23
	v_mul_f32_e32 v26, v17, v16
	v_rcp_f32_e32 v24, v20
	v_mul_f32_e32 v27, v17, v26
	v_mul_f32_e32 v26, v8, v26
	;; [unrolled: 1-line block ×3, first 2 shown]
	v_fma_f32 v28, -v20, v24, 1.0
	v_fmac_f32_e32 v24, v28, v24
	v_mul_f32_e32 v28, v21, v24
	v_fma_f32 v29, -v20, v28, v21
	v_fmac_f32_e32 v28, v29, v24
	v_sub_f32_e32 v31, v8, v7
	v_mul_f32_e32 v15, v18, v18
	v_rcp_f32_e32 v29, v25
	v_mul_f32_e32 v26, v31, v26
	v_fma_f32 v20, -v20, v28, v21
	v_div_scale_f32 v31, s[2:3], v15, v15, v26
	v_fma_f32 v21, -v25, v29, 1.0
	v_fmac_f32_e32 v29, v21, v29
	v_div_fmas_f32 v20, v20, v24, v28
	v_mul_f32_e32 v24, v30, v29
	v_fma_f32 v28, -v25, v24, v30
	v_fmac_f32_e32 v24, v28, v29
	v_fma_f32 v25, -v25, v24, v30
	s_mov_b64 vcc, s[0:1]
	v_div_fmas_f32 v24, v25, v29, v24
	v_mul_f32_e32 v29, v12, v7
	v_div_scale_f32 v21, s[2:3], v26, v15, v26
	v_mul_f32_e32 v28, 0x40400000, v17
	s_waitcnt lgkmcnt(2)
	v_fma_f32 v29, v8, v6, -v29
	v_mul_f32_e32 v28, v28, v29
	v_div_scale_f32 v29, s[0:1], v18, v18, v28
	v_div_scale_f32 v32, s[0:1], v28, v18, v28
	v_rcp_f32_e32 v25, v31
	v_mul_f32_e32 v33, v8, v8
	v_mul_f32_e32 v27, v8, v27
	v_fma_f32 v34, -v8, v7, v33
	v_fma_f32 v30, -v31, v25, 1.0
	v_fmac_f32_e32 v25, v30, v25
	v_mul_f32_e32 v27, v27, v7
	v_mul_f32_e32 v30, v21, v25
	v_fma_f32 v35, -v31, v30, v21
	v_fmac_f32_e32 v30, v35, v25
	v_fmac_f32_e32 v34, v7, v7
	v_mul_f32_e32 v22, v18, v15
	v_rcp_f32_e32 v35, v29
	v_mul_f32_e32 v27, v34, v27
	v_fma_f32 v21, -v31, v30, v21
	s_mov_b64 vcc, s[2:3]
	v_div_scale_f32 v34, s[10:11], v22, v22, v27
	v_div_fmas_f32 v21, v21, v25, v30
	v_fma_f32 v25, -v29, v35, 1.0
	v_fmac_f32_e32 v35, v25, v35
	v_mul_f32_e32 v25, v32, v35
	v_fma_f32 v30, -v29, v25, v32
	v_fmac_f32_e32 v25, v30, v35
	v_fma_f32 v29, -v29, v25, v32
	s_mov_b64 vcc, s[0:1]
	v_div_fmas_f32 v25, v29, v35, v25
	v_div_scale_f32 v31, vcc, v27, v22, v27
	v_mul_f32_e32 v29, v7, v7
	v_mul_f32_e32 v32, v33, v6
	v_mul_f32_e32 v16, 0x40c00000, v16
	v_fmac_f32_e32 v32, v12, v29
	v_mul_f32_e32 v16, v16, v32
	v_div_scale_f32 v29, s[0:1], v15, v15, v16
	v_mul_f32_e32 v7, v13, v7
	v_rcp_f32_e32 v30, v34
	v_div_scale_f32 v33, s[0:1], v16, v15, v16
	v_mul_f32_e32 v17, 4.0, v17
	s_waitcnt lgkmcnt(1)
	v_fma_f32 v7, v8, v5, -v7
	v_mul_f32_e32 v7, v17, v7
	v_div_scale_f32 v8, s[2:3], v18, v18, v7
	v_fma_f32 v32, -v34, v30, 1.0
	v_fmac_f32_e32 v30, v32, v30
	v_mul_f32_e32 v17, v31, v30
	v_fma_f32 v32, -v34, v17, v31
	v_fmac_f32_e32 v17, v32, v30
	v_div_scale_f32 v32, s[2:3], v7, v18, v7
	v_rcp_f32_e32 v35, v29
	v_fma_f32 v31, -v34, v17, v31
	v_div_fmas_f32 v17, v31, v30, v17
	s_mov_b64 vcc, s[0:1]
	v_fma_f32 v30, -v29, v35, 1.0
	v_fmac_f32_e32 v35, v30, v35
	v_mul_f32_e32 v30, v33, v35
	v_fma_f32 v31, -v29, v30, v33
	v_fmac_f32_e32 v30, v31, v35
	v_rcp_f32_e32 v31, v8
	v_fma_f32 v29, -v29, v30, v33
	v_div_fmas_f32 v29, v29, v35, v30
	s_mov_b64 vcc, s[2:3]
	v_fma_f32 v30, -v8, v31, 1.0
	v_fmac_f32_e32 v31, v30, v31
	v_mul_f32_e32 v30, v32, v31
	v_fma_f32 v33, -v8, v30, v32
	v_fmac_f32_e32 v30, v33, v31
	v_fma_f32 v8, -v8, v30, v32
	v_div_fmas_f32 v8, v8, v31, v30
	v_add_f32_e32 v6, v12, v6
	v_div_fixup_f32 v12, v24, v18, v23
	v_add_f32_e32 v6, v6, v12
	v_add_f32_e32 v5, v13, v5
	v_div_fixup_f32 v12, v21, v15, v26
	v_add_f32_e32 v5, v5, v12
	v_div_fixup_f32 v12, v25, v18, v28
	v_add_f32_e32 v13, v12, v5
	s_waitcnt lgkmcnt(0)
	v_add_f32_e32 v4, v14, v4
	v_div_fixup_f32 v12, v17, v22, v27
	v_add_f32_e32 v4, v4, v12
	v_div_fixup_f32 v12, v29, v15, v16
	v_div_fixup_f32 v19, v20, v18, v19
	v_add_f32_e32 v4, v12, v4
	v_add_f32_e32 v11, v11, v19
	v_div_fixup_f32 v7, v8, v18, v7
	v_add_f32_e32 v14, v7, v4
	v_mov_b32_e32 v12, v6
	v_mov_b32_e32 v8, v18
.LBB31_39:
	s_or_b64 exec, exec, s[4:5]
	v_cmp_gt_u32_e32 vcc, 56, v2
	s_waitcnt lgkmcnt(0)
	v_cndmask_b32_e64 v4, 0, 8, vcc
	v_add_lshl_u32 v4, v4, v1, 2
	ds_bpermute_b32 v7, v4, v8
	ds_bpermute_b32 v16, v4, v9
	;; [unrolled: 1-line block ×7, first 2 shown]
	v_add_u32_e32 v18, 8, v2
	v_cmp_lt_u32_e32 vcc, v18, v3
	s_and_saveexec_b64 s[4:5], vcc
	s_cbranch_execz .LBB31_41
; %bb.40:
	s_waitcnt lgkmcnt(3)
	v_sub_f32_e32 v17, v17, v11
	v_add_f32_e32 v18, v8, v7
	v_mul_f32_e32 v19, v17, v7
	v_div_scale_f32 v20, s[0:1], v18, v18, v19
	v_cmp_gt_f32_e64 s[0:1], v9, v16
	v_cndmask_b32_e64 v9, v9, v16, s[0:1]
	v_mul_f32_e32 v16, v17, v17
	v_div_scale_f32 v21, vcc, v19, v18, v19
	v_mul_f32_e32 v23, v8, v16
	v_cmp_lt_f32_e64 s[0:1], v10, v15
	v_mul_f32_e32 v23, v23, v7
	v_cndmask_b32_e64 v10, v10, v15, s[0:1]
	v_div_scale_f32 v25, s[0:1], v18, v18, v23
	v_div_scale_f32 v30, s[0:1], v23, v18, v23
	v_mul_f32_e32 v26, v17, v16
	v_rcp_f32_e32 v24, v20
	v_mul_f32_e32 v27, v17, v26
	v_mul_f32_e32 v26, v8, v26
	;; [unrolled: 1-line block ×3, first 2 shown]
	v_fma_f32 v28, -v20, v24, 1.0
	v_fmac_f32_e32 v24, v28, v24
	v_mul_f32_e32 v28, v21, v24
	v_fma_f32 v29, -v20, v28, v21
	v_fmac_f32_e32 v28, v29, v24
	v_sub_f32_e32 v31, v8, v7
	v_mul_f32_e32 v15, v18, v18
	v_rcp_f32_e32 v29, v25
	v_mul_f32_e32 v26, v31, v26
	v_fma_f32 v20, -v20, v28, v21
	v_div_scale_f32 v31, s[2:3], v15, v15, v26
	v_fma_f32 v21, -v25, v29, 1.0
	v_fmac_f32_e32 v29, v21, v29
	v_div_fmas_f32 v20, v20, v24, v28
	v_mul_f32_e32 v24, v30, v29
	v_fma_f32 v28, -v25, v24, v30
	v_fmac_f32_e32 v24, v28, v29
	v_fma_f32 v25, -v25, v24, v30
	s_mov_b64 vcc, s[0:1]
	v_div_fmas_f32 v24, v25, v29, v24
	v_mul_f32_e32 v29, v12, v7
	v_div_scale_f32 v21, s[2:3], v26, v15, v26
	v_mul_f32_e32 v28, 0x40400000, v17
	s_waitcnt lgkmcnt(2)
	v_fma_f32 v29, v8, v6, -v29
	v_mul_f32_e32 v28, v28, v29
	v_div_scale_f32 v29, s[0:1], v18, v18, v28
	v_div_scale_f32 v32, s[0:1], v28, v18, v28
	v_rcp_f32_e32 v25, v31
	v_mul_f32_e32 v33, v8, v8
	v_mul_f32_e32 v27, v8, v27
	v_fma_f32 v34, -v8, v7, v33
	v_fma_f32 v30, -v31, v25, 1.0
	v_fmac_f32_e32 v25, v30, v25
	v_mul_f32_e32 v27, v27, v7
	v_mul_f32_e32 v30, v21, v25
	v_fma_f32 v35, -v31, v30, v21
	v_fmac_f32_e32 v30, v35, v25
	v_fmac_f32_e32 v34, v7, v7
	v_mul_f32_e32 v22, v18, v15
	v_rcp_f32_e32 v35, v29
	v_mul_f32_e32 v27, v34, v27
	v_fma_f32 v21, -v31, v30, v21
	s_mov_b64 vcc, s[2:3]
	v_div_scale_f32 v34, s[10:11], v22, v22, v27
	v_div_fmas_f32 v21, v21, v25, v30
	v_fma_f32 v25, -v29, v35, 1.0
	v_fmac_f32_e32 v35, v25, v35
	v_mul_f32_e32 v25, v32, v35
	v_fma_f32 v30, -v29, v25, v32
	v_fmac_f32_e32 v25, v30, v35
	v_fma_f32 v29, -v29, v25, v32
	s_mov_b64 vcc, s[0:1]
	v_div_fmas_f32 v25, v29, v35, v25
	v_div_scale_f32 v31, vcc, v27, v22, v27
	v_mul_f32_e32 v29, v7, v7
	v_mul_f32_e32 v32, v33, v6
	;; [unrolled: 1-line block ×3, first 2 shown]
	v_fmac_f32_e32 v32, v12, v29
	v_mul_f32_e32 v16, v16, v32
	v_div_scale_f32 v29, s[0:1], v15, v15, v16
	v_mul_f32_e32 v7, v13, v7
	v_rcp_f32_e32 v30, v34
	v_div_scale_f32 v33, s[0:1], v16, v15, v16
	v_mul_f32_e32 v17, 4.0, v17
	s_waitcnt lgkmcnt(1)
	v_fma_f32 v7, v8, v5, -v7
	v_mul_f32_e32 v7, v17, v7
	v_div_scale_f32 v8, s[2:3], v18, v18, v7
	v_fma_f32 v32, -v34, v30, 1.0
	v_fmac_f32_e32 v30, v32, v30
	v_mul_f32_e32 v17, v31, v30
	v_fma_f32 v32, -v34, v17, v31
	v_fmac_f32_e32 v17, v32, v30
	v_div_scale_f32 v32, s[2:3], v7, v18, v7
	v_rcp_f32_e32 v35, v29
	v_fma_f32 v31, -v34, v17, v31
	v_div_fmas_f32 v17, v31, v30, v17
	s_mov_b64 vcc, s[0:1]
	v_fma_f32 v30, -v29, v35, 1.0
	v_fmac_f32_e32 v35, v30, v35
	v_mul_f32_e32 v30, v33, v35
	v_fma_f32 v31, -v29, v30, v33
	v_fmac_f32_e32 v30, v31, v35
	v_rcp_f32_e32 v31, v8
	v_fma_f32 v29, -v29, v30, v33
	v_div_fmas_f32 v29, v29, v35, v30
	s_mov_b64 vcc, s[2:3]
	v_fma_f32 v30, -v8, v31, 1.0
	v_fmac_f32_e32 v31, v30, v31
	v_mul_f32_e32 v30, v32, v31
	v_fma_f32 v33, -v8, v30, v32
	v_fmac_f32_e32 v30, v33, v31
	v_fma_f32 v8, -v8, v30, v32
	v_div_fmas_f32 v8, v8, v31, v30
	v_add_f32_e32 v6, v12, v6
	v_div_fixup_f32 v12, v24, v18, v23
	v_add_f32_e32 v6, v6, v12
	v_add_f32_e32 v5, v13, v5
	v_div_fixup_f32 v12, v21, v15, v26
	v_add_f32_e32 v5, v5, v12
	v_div_fixup_f32 v12, v25, v18, v28
	v_add_f32_e32 v13, v12, v5
	s_waitcnt lgkmcnt(0)
	v_add_f32_e32 v4, v14, v4
	v_div_fixup_f32 v12, v17, v22, v27
	v_add_f32_e32 v4, v4, v12
	v_div_fixup_f32 v12, v29, v15, v16
	v_div_fixup_f32 v19, v20, v18, v19
	v_add_f32_e32 v4, v12, v4
	v_add_f32_e32 v11, v11, v19
	v_div_fixup_f32 v7, v8, v18, v7
	v_add_f32_e32 v14, v7, v4
	v_mov_b32_e32 v12, v6
	v_mov_b32_e32 v8, v18
.LBB31_41:
	s_or_b64 exec, exec, s[4:5]
	v_cmp_gt_u32_e32 vcc, 48, v2
	s_waitcnt lgkmcnt(0)
	v_cndmask_b32_e64 v4, 0, 16, vcc
	v_add_lshl_u32 v4, v4, v1, 2
	ds_bpermute_b32 v7, v4, v8
	ds_bpermute_b32 v16, v4, v9
	;; [unrolled: 1-line block ×7, first 2 shown]
	v_add_u32_e32 v18, 16, v2
	v_cmp_lt_u32_e32 vcc, v18, v3
	s_and_saveexec_b64 s[4:5], vcc
	s_cbranch_execz .LBB31_43
; %bb.42:
	s_waitcnt lgkmcnt(3)
	v_sub_f32_e32 v17, v17, v11
	v_add_f32_e32 v18, v8, v7
	v_mul_f32_e32 v19, v17, v7
	v_div_scale_f32 v20, s[0:1], v18, v18, v19
	v_cmp_gt_f32_e64 s[0:1], v9, v16
	v_cndmask_b32_e64 v9, v9, v16, s[0:1]
	v_mul_f32_e32 v16, v17, v17
	v_div_scale_f32 v21, vcc, v19, v18, v19
	v_mul_f32_e32 v23, v8, v16
	v_cmp_lt_f32_e64 s[0:1], v10, v15
	v_mul_f32_e32 v23, v23, v7
	v_cndmask_b32_e64 v10, v10, v15, s[0:1]
	v_div_scale_f32 v25, s[0:1], v18, v18, v23
	v_div_scale_f32 v30, s[0:1], v23, v18, v23
	v_mul_f32_e32 v26, v17, v16
	v_rcp_f32_e32 v24, v20
	v_mul_f32_e32 v27, v17, v26
	v_mul_f32_e32 v26, v8, v26
	;; [unrolled: 1-line block ×3, first 2 shown]
	v_fma_f32 v28, -v20, v24, 1.0
	v_fmac_f32_e32 v24, v28, v24
	v_mul_f32_e32 v28, v21, v24
	v_fma_f32 v29, -v20, v28, v21
	v_fmac_f32_e32 v28, v29, v24
	v_sub_f32_e32 v31, v8, v7
	v_mul_f32_e32 v15, v18, v18
	v_rcp_f32_e32 v29, v25
	v_mul_f32_e32 v26, v31, v26
	v_fma_f32 v20, -v20, v28, v21
	v_div_scale_f32 v31, s[2:3], v15, v15, v26
	v_fma_f32 v21, -v25, v29, 1.0
	v_fmac_f32_e32 v29, v21, v29
	v_div_fmas_f32 v20, v20, v24, v28
	v_mul_f32_e32 v24, v30, v29
	v_fma_f32 v28, -v25, v24, v30
	v_fmac_f32_e32 v24, v28, v29
	v_fma_f32 v25, -v25, v24, v30
	s_mov_b64 vcc, s[0:1]
	v_div_fmas_f32 v24, v25, v29, v24
	v_mul_f32_e32 v29, v12, v7
	v_div_scale_f32 v21, s[2:3], v26, v15, v26
	v_mul_f32_e32 v28, 0x40400000, v17
	s_waitcnt lgkmcnt(2)
	v_fma_f32 v29, v8, v6, -v29
	v_mul_f32_e32 v28, v28, v29
	v_div_scale_f32 v29, s[0:1], v18, v18, v28
	v_div_scale_f32 v32, s[0:1], v28, v18, v28
	v_rcp_f32_e32 v25, v31
	v_mul_f32_e32 v33, v8, v8
	v_mul_f32_e32 v27, v8, v27
	v_fma_f32 v34, -v8, v7, v33
	v_fma_f32 v30, -v31, v25, 1.0
	v_fmac_f32_e32 v25, v30, v25
	v_mul_f32_e32 v27, v27, v7
	v_mul_f32_e32 v30, v21, v25
	v_fma_f32 v35, -v31, v30, v21
	v_fmac_f32_e32 v30, v35, v25
	v_fmac_f32_e32 v34, v7, v7
	v_mul_f32_e32 v22, v18, v15
	v_rcp_f32_e32 v35, v29
	v_mul_f32_e32 v27, v34, v27
	v_fma_f32 v21, -v31, v30, v21
	s_mov_b64 vcc, s[2:3]
	v_div_scale_f32 v34, s[10:11], v22, v22, v27
	v_div_fmas_f32 v21, v21, v25, v30
	v_fma_f32 v25, -v29, v35, 1.0
	v_fmac_f32_e32 v35, v25, v35
	v_mul_f32_e32 v25, v32, v35
	v_fma_f32 v30, -v29, v25, v32
	v_fmac_f32_e32 v25, v30, v35
	v_fma_f32 v29, -v29, v25, v32
	s_mov_b64 vcc, s[0:1]
	v_div_fmas_f32 v25, v29, v35, v25
	v_div_scale_f32 v31, vcc, v27, v22, v27
	v_mul_f32_e32 v29, v7, v7
	v_mul_f32_e32 v32, v33, v6
	;; [unrolled: 1-line block ×3, first 2 shown]
	v_fmac_f32_e32 v32, v12, v29
	v_mul_f32_e32 v16, v16, v32
	v_div_scale_f32 v29, s[0:1], v15, v15, v16
	v_mul_f32_e32 v7, v13, v7
	v_rcp_f32_e32 v30, v34
	v_div_scale_f32 v33, s[0:1], v16, v15, v16
	v_mul_f32_e32 v17, 4.0, v17
	s_waitcnt lgkmcnt(1)
	v_fma_f32 v7, v8, v5, -v7
	v_mul_f32_e32 v7, v17, v7
	v_div_scale_f32 v8, s[2:3], v18, v18, v7
	v_fma_f32 v32, -v34, v30, 1.0
	v_fmac_f32_e32 v30, v32, v30
	v_mul_f32_e32 v17, v31, v30
	v_fma_f32 v32, -v34, v17, v31
	v_fmac_f32_e32 v17, v32, v30
	v_div_scale_f32 v32, s[2:3], v7, v18, v7
	v_rcp_f32_e32 v35, v29
	v_fma_f32 v31, -v34, v17, v31
	v_div_fmas_f32 v17, v31, v30, v17
	s_mov_b64 vcc, s[0:1]
	v_fma_f32 v30, -v29, v35, 1.0
	v_fmac_f32_e32 v35, v30, v35
	v_mul_f32_e32 v30, v33, v35
	v_fma_f32 v31, -v29, v30, v33
	v_fmac_f32_e32 v30, v31, v35
	v_rcp_f32_e32 v31, v8
	v_fma_f32 v29, -v29, v30, v33
	v_div_fmas_f32 v29, v29, v35, v30
	s_mov_b64 vcc, s[2:3]
	v_fma_f32 v30, -v8, v31, 1.0
	v_fmac_f32_e32 v31, v30, v31
	v_mul_f32_e32 v30, v32, v31
	v_fma_f32 v33, -v8, v30, v32
	v_fmac_f32_e32 v30, v33, v31
	v_fma_f32 v8, -v8, v30, v32
	v_div_fmas_f32 v8, v8, v31, v30
	v_add_f32_e32 v6, v12, v6
	v_div_fixup_f32 v12, v24, v18, v23
	v_add_f32_e32 v6, v6, v12
	v_add_f32_e32 v5, v13, v5
	v_div_fixup_f32 v12, v21, v15, v26
	v_add_f32_e32 v5, v5, v12
	v_div_fixup_f32 v12, v25, v18, v28
	v_add_f32_e32 v13, v12, v5
	s_waitcnt lgkmcnt(0)
	v_add_f32_e32 v4, v14, v4
	v_div_fixup_f32 v12, v17, v22, v27
	v_add_f32_e32 v4, v4, v12
	v_div_fixup_f32 v12, v29, v15, v16
	v_div_fixup_f32 v19, v20, v18, v19
	v_add_f32_e32 v4, v12, v4
	v_add_f32_e32 v11, v11, v19
	v_div_fixup_f32 v7, v8, v18, v7
	v_add_f32_e32 v14, v7, v4
	v_mov_b32_e32 v12, v6
	v_mov_b32_e32 v8, v18
.LBB31_43:
	s_or_b64 exec, exec, s[4:5]
	s_waitcnt lgkmcnt(0)
	v_lshlrev_b32_e32 v4, 2, v1
	v_or_b32_e32 v5, 0x80, v4
	ds_bpermute_b32 v15, v5, v8
	ds_bpermute_b32 v17, v5, v9
	;; [unrolled: 1-line block ×7, first 2 shown]
	v_add_u32_e32 v2, 32, v2
	v_cmp_lt_u32_e32 vcc, v2, v3
	s_and_saveexec_b64 s[4:5], vcc
	s_cbranch_execz .LBB31_45
; %bb.44:
	s_waitcnt lgkmcnt(3)
	v_sub_f32_e32 v3, v18, v11
	v_add_f32_e32 v2, v8, v15
	v_mul_f32_e32 v18, v3, v15
	v_div_scale_f32 v19, s[0:1], v2, v2, v18
	v_cmp_gt_f32_e64 s[0:1], v9, v17
	v_cndmask_b32_e64 v9, v9, v17, s[0:1]
	v_mul_f32_e32 v17, v3, v3
	v_div_scale_f32 v20, vcc, v18, v2, v18
	v_mul_f32_e32 v22, v8, v17
	v_cmp_lt_f32_e64 s[0:1], v10, v16
	v_mul_f32_e32 v22, v22, v15
	v_cndmask_b32_e64 v10, v10, v16, s[0:1]
	v_div_scale_f32 v24, s[0:1], v2, v2, v22
	v_div_scale_f32 v29, s[0:1], v22, v2, v22
	v_mul_f32_e32 v25, v3, v17
	v_rcp_f32_e32 v23, v19
	v_mul_f32_e32 v26, v3, v25
	v_mul_f32_e32 v25, v8, v25
	;; [unrolled: 1-line block ×3, first 2 shown]
	v_fma_f32 v27, -v19, v23, 1.0
	v_fmac_f32_e32 v23, v27, v23
	v_mul_f32_e32 v27, v20, v23
	v_fma_f32 v28, -v19, v27, v20
	v_fmac_f32_e32 v27, v28, v23
	v_sub_f32_e32 v30, v8, v15
	v_mul_f32_e32 v16, v2, v2
	v_rcp_f32_e32 v28, v24
	v_mul_f32_e32 v25, v30, v25
	v_fma_f32 v19, -v19, v27, v20
	v_div_scale_f32 v30, s[2:3], v16, v16, v25
	v_fma_f32 v20, -v24, v28, 1.0
	v_fmac_f32_e32 v28, v20, v28
	v_div_fmas_f32 v19, v19, v23, v27
	v_mul_f32_e32 v23, v29, v28
	v_fma_f32 v27, -v24, v23, v29
	v_fmac_f32_e32 v23, v27, v28
	v_fma_f32 v24, -v24, v23, v29
	s_mov_b64 vcc, s[0:1]
	v_div_fmas_f32 v23, v24, v28, v23
	v_mul_f32_e32 v28, v12, v15
	v_div_scale_f32 v20, s[2:3], v25, v16, v25
	v_mul_f32_e32 v27, 0x40400000, v3
	s_waitcnt lgkmcnt(2)
	v_fma_f32 v28, v8, v7, -v28
	v_mul_f32_e32 v27, v27, v28
	v_div_scale_f32 v28, s[0:1], v2, v2, v27
	v_div_scale_f32 v31, s[0:1], v27, v2, v27
	v_rcp_f32_e32 v24, v30
	v_mul_f32_e32 v32, v8, v8
	v_mul_f32_e32 v26, v8, v26
	v_fma_f32 v33, -v8, v15, v32
	v_fma_f32 v29, -v30, v24, 1.0
	v_fmac_f32_e32 v24, v29, v24
	v_mul_f32_e32 v26, v26, v15
	v_mul_f32_e32 v29, v20, v24
	v_fma_f32 v34, -v30, v29, v20
	v_fmac_f32_e32 v29, v34, v24
	v_fmac_f32_e32 v33, v15, v15
	v_mul_f32_e32 v21, v2, v16
	v_rcp_f32_e32 v34, v28
	v_mul_f32_e32 v26, v33, v26
	v_fma_f32 v20, -v30, v29, v20
	s_mov_b64 vcc, s[2:3]
	v_div_scale_f32 v33, s[10:11], v21, v21, v26
	v_div_fmas_f32 v20, v20, v24, v29
	v_fma_f32 v24, -v28, v34, 1.0
	v_fmac_f32_e32 v34, v24, v34
	v_mul_f32_e32 v24, v31, v34
	v_fma_f32 v29, -v28, v24, v31
	v_fmac_f32_e32 v24, v29, v34
	v_fma_f32 v28, -v28, v24, v31
	s_mov_b64 vcc, s[0:1]
	v_div_fmas_f32 v24, v28, v34, v24
	v_div_scale_f32 v30, vcc, v26, v21, v26
	v_mul_f32_e32 v28, v15, v15
	v_mul_f32_e32 v31, v32, v7
	;; [unrolled: 1-line block ×3, first 2 shown]
	v_fmac_f32_e32 v31, v12, v28
	v_mul_f32_e32 v17, v17, v31
	v_div_scale_f32 v28, s[0:1], v16, v16, v17
	v_mul_f32_e32 v15, v13, v15
	v_rcp_f32_e32 v29, v33
	v_div_scale_f32 v32, s[0:1], v17, v16, v17
	v_mul_f32_e32 v3, 4.0, v3
	s_waitcnt lgkmcnt(1)
	v_fma_f32 v8, v8, v6, -v15
	v_mul_f32_e32 v3, v3, v8
	v_div_scale_f32 v8, s[2:3], v2, v2, v3
	v_fma_f32 v31, -v33, v29, 1.0
	v_fmac_f32_e32 v29, v31, v29
	v_mul_f32_e32 v15, v30, v29
	v_fma_f32 v31, -v33, v15, v30
	v_fmac_f32_e32 v15, v31, v29
	v_div_scale_f32 v31, s[2:3], v3, v2, v3
	v_rcp_f32_e32 v34, v28
	v_fma_f32 v30, -v33, v15, v30
	v_div_fmas_f32 v15, v30, v29, v15
	s_mov_b64 vcc, s[0:1]
	v_fma_f32 v29, -v28, v34, 1.0
	v_fmac_f32_e32 v34, v29, v34
	v_mul_f32_e32 v29, v32, v34
	v_fma_f32 v30, -v28, v29, v32
	v_fmac_f32_e32 v29, v30, v34
	v_rcp_f32_e32 v30, v8
	v_fma_f32 v28, -v28, v29, v32
	v_div_fmas_f32 v28, v28, v34, v29
	s_mov_b64 vcc, s[2:3]
	v_fma_f32 v29, -v8, v30, 1.0
	v_fmac_f32_e32 v30, v29, v30
	v_mul_f32_e32 v29, v31, v30
	v_fma_f32 v32, -v8, v29, v31
	v_fmac_f32_e32 v29, v32, v30
	v_fma_f32 v8, -v8, v29, v31
	v_div_fmas_f32 v8, v8, v30, v29
	v_add_f32_e32 v7, v12, v7
	v_div_fixup_f32 v12, v23, v2, v22
	v_add_f32_e32 v7, v7, v12
	v_add_f32_e32 v6, v13, v6
	v_div_fixup_f32 v12, v20, v16, v25
	v_add_f32_e32 v6, v6, v12
	v_div_fixup_f32 v12, v24, v2, v27
	v_add_f32_e32 v13, v12, v6
	s_waitcnt lgkmcnt(0)
	v_add_f32_e32 v5, v14, v5
	v_div_fixup_f32 v12, v15, v21, v26
	v_add_f32_e32 v5, v5, v12
	v_div_fixup_f32 v12, v28, v16, v17
	v_div_fixup_f32 v18, v19, v2, v18
	v_add_f32_e32 v5, v12, v5
	v_add_f32_e32 v11, v11, v18
	v_div_fixup_f32 v3, v8, v2, v3
	v_add_f32_e32 v14, v3, v5
	v_mov_b32_e32 v12, v7
	v_mov_b32_e32 v8, v2
.LBB31_45:
	s_or_b64 exec, exec, s[4:5]
	v_cmp_eq_u32_e32 vcc, 0, v1
	s_and_saveexec_b64 s[0:1], vcc
	s_cbranch_execz .LBB31_47
; %bb.46:
	v_lshrrev_b32_e32 v2, 6, v0
	v_mul_u32_u24_e32 v2, 28, v2
	ds_write2_b32 v2, v8, v9 offset1:1
	ds_write2_b32 v2, v10, v11 offset0:2 offset1:3
	ds_write2_b32 v2, v12, v13 offset0:4 offset1:5
	ds_write_b32 v2, v14 offset:24
.LBB31_47:
	s_or_b64 exec, exec, s[0:1]
	v_cmp_gt_u32_e32 vcc, 4, v0
	s_waitcnt lgkmcnt(0)
	s_barrier
	s_and_saveexec_b64 s[4:5], vcc
	s_cbranch_execz .LBB31_53
; %bb.48:
	v_mul_u32_u24_e32 v2, 28, v1
	ds_read2_b32 v[8:9], v2 offset1:1
	ds_read2_b32 v[10:11], v2 offset0:2 offset1:3
	ds_read2_b32 v[12:13], v2 offset0:4 offset1:5
	ds_read_b32 v14, v2 offset:24
	v_and_b32_e32 v2, 3, v1
	v_cmp_ne_u32_e32 vcc, 3, v2
	v_addc_co_u32_e32 v1, vcc, 0, v1, vcc
	v_lshlrev_b32_e32 v1, 2, v1
	s_waitcnt lgkmcnt(3)
	ds_bpermute_b32 v7, v1, v8
	ds_bpermute_b32 v18, v1, v9
	s_waitcnt lgkmcnt(4)
	ds_bpermute_b32 v17, v1, v10
	ds_bpermute_b32 v19, v1, v11
	;; [unrolled: 3-line block ×3, first 2 shown]
	s_waitcnt lgkmcnt(6)
	ds_bpermute_b32 v3, v1, v14
	s_add_i32 s8, s8, 63
	s_lshr_b32 s10, s8, 6
	v_add_u32_e32 v15, 1, v2
	v_cmp_gt_u32_e32 vcc, s10, v15
	v_mov_b32_e32 v16, v13
	v_mov_b32_e32 v15, v12
	;; [unrolled: 1-line block ×3, first 2 shown]
	s_and_saveexec_b64 s[8:9], vcc
	s_cbranch_execz .LBB31_50
; %bb.49:
	s_waitcnt lgkmcnt(3)
	v_sub_f32_e32 v15, v19, v11
	v_add_f32_e32 v1, v8, v7
	v_mul_f32_e32 v16, v15, v7
	v_div_scale_f32 v19, s[0:1], v1, v1, v16
	v_cmp_gt_f32_e64 s[0:1], v9, v18
	v_cndmask_b32_e64 v9, v9, v18, s[0:1]
	v_mul_f32_e32 v18, v15, v15
	v_div_scale_f32 v20, vcc, v16, v1, v16
	v_mul_f32_e32 v22, v8, v18
	v_cmp_lt_f32_e64 s[0:1], v10, v17
	v_mul_f32_e32 v22, v22, v7
	v_cndmask_b32_e64 v10, v10, v17, s[0:1]
	v_div_scale_f32 v24, s[0:1], v1, v1, v22
	v_div_scale_f32 v29, s[0:1], v22, v1, v22
	v_mul_f32_e32 v25, v15, v18
	v_rcp_f32_e32 v23, v19
	v_mul_f32_e32 v26, v15, v25
	v_mul_f32_e32 v25, v8, v25
	;; [unrolled: 1-line block ×3, first 2 shown]
	v_fma_f32 v27, -v19, v23, 1.0
	v_fmac_f32_e32 v23, v27, v23
	v_mul_f32_e32 v27, v20, v23
	v_fma_f32 v28, -v19, v27, v20
	v_fmac_f32_e32 v27, v28, v23
	v_sub_f32_e32 v30, v8, v7
	v_mul_f32_e32 v17, v1, v1
	v_rcp_f32_e32 v28, v24
	v_mul_f32_e32 v25, v30, v25
	v_fma_f32 v19, -v19, v27, v20
	v_div_scale_f32 v30, s[2:3], v17, v17, v25
	v_fma_f32 v20, -v24, v28, 1.0
	v_fmac_f32_e32 v28, v20, v28
	v_div_fmas_f32 v19, v19, v23, v27
	v_mul_f32_e32 v23, v29, v28
	v_fma_f32 v27, -v24, v23, v29
	v_fmac_f32_e32 v23, v27, v28
	v_fma_f32 v24, -v24, v23, v29
	s_mov_b64 vcc, s[0:1]
	v_div_fmas_f32 v23, v24, v28, v23
	v_mul_f32_e32 v28, v12, v7
	v_div_scale_f32 v20, s[2:3], v25, v17, v25
	v_mul_f32_e32 v27, 0x40400000, v15
	s_waitcnt lgkmcnt(2)
	v_fma_f32 v28, v8, v6, -v28
	v_mul_f32_e32 v27, v27, v28
	v_div_scale_f32 v28, s[0:1], v1, v1, v27
	v_div_scale_f32 v31, s[0:1], v27, v1, v27
	v_rcp_f32_e32 v24, v30
	v_mul_f32_e32 v32, v8, v8
	v_mul_f32_e32 v26, v8, v26
	v_fma_f32 v33, -v8, v7, v32
	v_fma_f32 v29, -v30, v24, 1.0
	v_fmac_f32_e32 v24, v29, v24
	v_mul_f32_e32 v26, v26, v7
	v_mul_f32_e32 v29, v20, v24
	v_fma_f32 v34, -v30, v29, v20
	v_fmac_f32_e32 v29, v34, v24
	v_fmac_f32_e32 v33, v7, v7
	v_mul_f32_e32 v21, v1, v17
	v_rcp_f32_e32 v34, v28
	v_mul_f32_e32 v26, v33, v26
	v_fma_f32 v20, -v30, v29, v20
	s_mov_b64 vcc, s[2:3]
	v_div_scale_f32 v33, s[28:29], v21, v21, v26
	v_div_fmas_f32 v20, v20, v24, v29
	v_fma_f32 v24, -v28, v34, 1.0
	v_fmac_f32_e32 v34, v24, v34
	v_mul_f32_e32 v24, v31, v34
	v_fma_f32 v29, -v28, v24, v31
	v_fmac_f32_e32 v24, v29, v34
	v_fma_f32 v28, -v28, v24, v31
	s_mov_b64 vcc, s[0:1]
	v_div_fmas_f32 v24, v28, v34, v24
	v_div_scale_f32 v30, vcc, v26, v21, v26
	v_mul_f32_e32 v28, v7, v7
	v_mul_f32_e32 v31, v32, v6
	v_mul_f32_e32 v18, 0x40c00000, v18
	v_fmac_f32_e32 v31, v12, v28
	v_mul_f32_e32 v18, v18, v31
	v_div_scale_f32 v28, s[0:1], v17, v17, v18
	v_mul_f32_e32 v7, v13, v7
	v_rcp_f32_e32 v29, v33
	v_div_scale_f32 v32, s[0:1], v18, v17, v18
	v_mul_f32_e32 v15, 4.0, v15
	s_waitcnt lgkmcnt(1)
	v_fma_f32 v7, v8, v5, -v7
	v_mul_f32_e32 v7, v15, v7
	v_div_scale_f32 v8, s[2:3], v1, v1, v7
	v_fma_f32 v31, -v33, v29, 1.0
	v_fmac_f32_e32 v29, v31, v29
	v_mul_f32_e32 v15, v30, v29
	v_fma_f32 v31, -v33, v15, v30
	v_fmac_f32_e32 v15, v31, v29
	v_div_scale_f32 v31, s[2:3], v7, v1, v7
	v_rcp_f32_e32 v34, v28
	v_fma_f32 v30, -v33, v15, v30
	v_div_fmas_f32 v29, v30, v29, v15
	s_mov_b64 vcc, s[0:1]
	v_fma_f32 v15, -v28, v34, 1.0
	v_fmac_f32_e32 v34, v15, v34
	v_mul_f32_e32 v15, v32, v34
	v_fma_f32 v30, -v28, v15, v32
	v_fmac_f32_e32 v15, v30, v34
	v_rcp_f32_e32 v30, v8
	v_fma_f32 v28, -v28, v15, v32
	v_div_fmas_f32 v28, v28, v34, v15
	s_mov_b64 vcc, s[2:3]
	v_fma_f32 v15, -v8, v30, 1.0
	v_fmac_f32_e32 v30, v15, v30
	v_mul_f32_e32 v15, v31, v30
	v_fma_f32 v32, -v8, v15, v31
	v_fmac_f32_e32 v15, v32, v30
	v_fma_f32 v8, -v8, v15, v31
	v_div_fmas_f32 v8, v8, v30, v15
	v_div_fixup_f32 v15, v19, v1, v16
	v_add_f32_e32 v6, v12, v6
	v_div_fixup_f32 v12, v23, v1, v22
	v_add_f32_e32 v11, v11, v15
	v_add_f32_e32 v15, v6, v12
	;; [unrolled: 1-line block ×3, first 2 shown]
	v_div_fixup_f32 v6, v20, v17, v25
	v_add_f32_e32 v5, v5, v6
	v_div_fixup_f32 v6, v24, v1, v27
	v_add_f32_e32 v16, v6, v5
	s_waitcnt lgkmcnt(0)
	v_add_f32_e32 v3, v14, v3
	v_div_fixup_f32 v5, v29, v21, v26
	v_add_f32_e32 v3, v3, v5
	v_div_fixup_f32 v5, v28, v17, v18
	;; [unrolled: 2-line block ×3, first 2 shown]
	v_add_f32_e32 v14, v5, v3
	v_mov_b32_e32 v12, v15
	v_mov_b32_e32 v8, v1
	;; [unrolled: 1-line block ×3, first 2 shown]
.LBB31_50:
	s_or_b64 exec, exec, s[8:9]
	s_waitcnt lgkmcnt(5)
	v_or_b32_e32 v18, 8, v4
	s_waitcnt lgkmcnt(1)
	ds_bpermute_b32 v5, v18, v1
	ds_bpermute_b32 v7, v18, v9
	;; [unrolled: 1-line block ×5, first 2 shown]
	s_waitcnt lgkmcnt(5)
	ds_bpermute_b32 v3, v18, v16
	ds_bpermute_b32 v1, v18, v14
	v_add_u32_e32 v2, 2, v2
	v_cmp_gt_u32_e32 vcc, s10, v2
	s_and_saveexec_b64 s[8:9], vcc
	s_cbranch_execz .LBB31_52
; %bb.51:
	s_waitcnt lgkmcnt(3)
	v_sub_f32_e32 v15, v17, v11
	v_add_f32_e32 v2, v8, v5
	v_mul_f32_e32 v16, v15, v5
	v_div_scale_f32 v17, s[0:1], v2, v2, v16
	v_cmp_gt_f32_e64 s[0:1], v9, v7
	v_cndmask_b32_e64 v9, v9, v7, s[0:1]
	v_mul_f32_e32 v7, v15, v15
	v_div_scale_f32 v18, vcc, v16, v2, v16
	v_mul_f32_e32 v20, v8, v7
	v_cmp_lt_f32_e64 s[0:1], v10, v6
	v_mul_f32_e32 v20, v20, v5
	v_cndmask_b32_e64 v10, v10, v6, s[0:1]
	v_div_scale_f32 v22, s[0:1], v2, v2, v20
	v_div_scale_f32 v27, s[0:1], v20, v2, v20
	v_mul_f32_e32 v23, v15, v7
	v_rcp_f32_e32 v21, v17
	v_mul_f32_e32 v24, v15, v23
	v_mul_f32_e32 v23, v8, v23
	;; [unrolled: 1-line block ×3, first 2 shown]
	v_fma_f32 v25, -v17, v21, 1.0
	v_fmac_f32_e32 v21, v25, v21
	v_mul_f32_e32 v25, v18, v21
	v_fma_f32 v26, -v17, v25, v18
	v_fmac_f32_e32 v25, v26, v21
	v_sub_f32_e32 v28, v8, v5
	v_mul_f32_e32 v6, v2, v2
	v_rcp_f32_e32 v26, v22
	v_mul_f32_e32 v23, v28, v23
	v_fma_f32 v17, -v17, v25, v18
	v_div_scale_f32 v28, s[2:3], v6, v6, v23
	v_fma_f32 v18, -v22, v26, 1.0
	v_fmac_f32_e32 v26, v18, v26
	v_div_fmas_f32 v17, v17, v21, v25
	v_mul_f32_e32 v21, v27, v26
	v_fma_f32 v25, -v22, v21, v27
	v_fmac_f32_e32 v21, v25, v26
	v_fma_f32 v22, -v22, v21, v27
	s_mov_b64 vcc, s[0:1]
	v_div_fmas_f32 v21, v22, v26, v21
	v_mul_f32_e32 v26, v12, v5
	v_div_scale_f32 v18, s[2:3], v23, v6, v23
	v_mul_f32_e32 v25, 0x40400000, v15
	s_waitcnt lgkmcnt(2)
	v_fma_f32 v26, v8, v4, -v26
	v_mul_f32_e32 v25, v25, v26
	v_div_scale_f32 v26, s[0:1], v2, v2, v25
	v_div_scale_f32 v29, s[0:1], v25, v2, v25
	v_rcp_f32_e32 v22, v28
	v_mul_f32_e32 v30, v8, v8
	v_mul_f32_e32 v24, v8, v24
	v_fma_f32 v31, -v8, v5, v30
	v_fma_f32 v27, -v28, v22, 1.0
	v_fmac_f32_e32 v22, v27, v22
	v_mul_f32_e32 v24, v24, v5
	v_mul_f32_e32 v27, v18, v22
	v_fma_f32 v32, -v28, v27, v18
	v_fmac_f32_e32 v27, v32, v22
	v_fmac_f32_e32 v31, v5, v5
	v_mul_f32_e32 v19, v2, v6
	v_rcp_f32_e32 v32, v26
	v_mul_f32_e32 v24, v31, v24
	v_fma_f32 v18, -v28, v27, v18
	s_mov_b64 vcc, s[2:3]
	v_div_scale_f32 v31, s[10:11], v19, v19, v24
	v_div_fmas_f32 v18, v18, v22, v27
	v_fma_f32 v22, -v26, v32, 1.0
	v_fmac_f32_e32 v32, v22, v32
	v_mul_f32_e32 v22, v29, v32
	v_fma_f32 v27, -v26, v22, v29
	v_fmac_f32_e32 v22, v27, v32
	v_fma_f32 v26, -v26, v22, v29
	s_mov_b64 vcc, s[0:1]
	v_div_fmas_f32 v22, v26, v32, v22
	v_div_scale_f32 v28, vcc, v24, v19, v24
	v_mul_f32_e32 v26, v5, v5
	v_mul_f32_e32 v29, v30, v4
	;; [unrolled: 1-line block ×3, first 2 shown]
	v_fmac_f32_e32 v29, v12, v26
	v_mul_f32_e32 v7, v7, v29
	v_div_scale_f32 v26, s[0:1], v6, v6, v7
	v_mul_f32_e32 v5, v13, v5
	v_rcp_f32_e32 v27, v31
	v_div_scale_f32 v30, s[0:1], v7, v6, v7
	v_mul_f32_e32 v15, 4.0, v15
	s_waitcnt lgkmcnt(1)
	v_fma_f32 v5, v8, v3, -v5
	v_mul_f32_e32 v5, v15, v5
	v_div_scale_f32 v8, s[2:3], v2, v2, v5
	v_fma_f32 v29, -v31, v27, 1.0
	v_fmac_f32_e32 v27, v29, v27
	v_mul_f32_e32 v15, v28, v27
	v_fma_f32 v29, -v31, v15, v28
	v_fmac_f32_e32 v15, v29, v27
	v_div_scale_f32 v29, s[2:3], v5, v2, v5
	v_rcp_f32_e32 v32, v26
	v_fma_f32 v28, -v31, v15, v28
	v_div_fmas_f32 v15, v28, v27, v15
	s_mov_b64 vcc, s[0:1]
	v_fma_f32 v27, -v26, v32, 1.0
	v_fmac_f32_e32 v32, v27, v32
	v_mul_f32_e32 v27, v30, v32
	v_fma_f32 v28, -v26, v27, v30
	v_fmac_f32_e32 v27, v28, v32
	v_rcp_f32_e32 v28, v8
	v_fma_f32 v26, -v26, v27, v30
	v_div_fmas_f32 v26, v26, v32, v27
	s_mov_b64 vcc, s[2:3]
	v_fma_f32 v27, -v8, v28, 1.0
	v_fmac_f32_e32 v28, v27, v28
	v_mul_f32_e32 v27, v29, v28
	v_fma_f32 v30, -v8, v27, v29
	v_fmac_f32_e32 v27, v30, v28
	v_fma_f32 v8, -v8, v27, v29
	v_div_fmas_f32 v8, v8, v28, v27
	v_add_f32_e32 v4, v12, v4
	v_div_fixup_f32 v12, v21, v2, v20
	v_add_f32_e32 v4, v4, v12
	v_add_f32_e32 v3, v13, v3
	v_div_fixup_f32 v12, v18, v6, v23
	v_add_f32_e32 v3, v3, v12
	v_div_fixup_f32 v12, v22, v2, v25
	v_add_f32_e32 v13, v12, v3
	s_waitcnt lgkmcnt(0)
	v_add_f32_e32 v1, v14, v1
	v_div_fixup_f32 v12, v15, v19, v24
	v_add_f32_e32 v1, v1, v12
	v_div_fixup_f32 v6, v26, v6, v7
	v_div_fixup_f32 v16, v17, v2, v16
	v_add_f32_e32 v1, v6, v1
	v_add_f32_e32 v11, v11, v16
	v_div_fixup_f32 v5, v8, v2, v5
	v_add_f32_e32 v14, v5, v1
	v_mov_b32_e32 v8, v2
	v_mov_b32_e32 v12, v4
.LBB31_52:
	s_or_b64 exec, exec, s[8:9]
.LBB31_53:
	s_or_b64 exec, exec, s[4:5]
.LBB31_54:
	v_cmp_eq_u32_e32 vcc, 0, v0
	s_mov_b64 s[28:29], 0
                                        ; implicit-def: $vgpr7
                                        ; implicit-def: $vgpr4
	s_and_saveexec_b64 s[0:1], vcc
	s_xor_b64 s[4:5], exec, s[0:1]
	s_cbranch_execz .LBB31_58
; %bb.55:
	s_cmp_eq_u64 s[16:17], 0
	s_waitcnt lgkmcnt(5)
	v_mov_b32_e32 v7, s26
	s_waitcnt lgkmcnt(4)
	v_mov_b32_e32 v6, s25
	v_mov_b32_e32 v5, s24
	s_waitcnt lgkmcnt(2)
	v_mov_b32_e32 v4, s23
	s_waitcnt lgkmcnt(1)
	v_mov_b32_e32 v3, s22
	v_mov_b32_e32 v2, s21
	s_waitcnt lgkmcnt(0)
	v_mov_b32_e32 v1, s20
	s_cbranch_scc1 .LBB31_57
; %bb.56:
	v_subrev_f32_e32 v4, s23, v11
	v_add_f32_e32 v1, s20, v8
	v_mul_f32_e32 v5, v4, v8
	v_div_scale_f32 v6, s[0:1], v1, v1, v5
	v_mul_f32_e32 v15, v4, v4
	v_div_scale_f32 v11, vcc, v5, v1, v5
	v_mul_f32_e32 v17, s20, v15
	v_mov_b32_e32 v2, s21
	v_cmp_gt_f32_e64 s[0:1], s21, v9
	v_mul_f32_e32 v17, v8, v17
	v_cndmask_b32_e64 v2, v2, v9, s[0:1]
	v_div_scale_f32 v20, s[0:1], v1, v1, v17
	v_mov_b32_e32 v3, s22
	v_cmp_lt_f32_e64 s[0:1], s22, v10
	v_cndmask_b32_e64 v3, v3, v10, s[0:1]
	v_div_scale_f32 v22, s[0:1], v17, v1, v17
	v_rcp_f32_e32 v19, v6
	v_mul_f32_e32 v16, v4, v15
	v_mul_f32_e32 v18, v4, v16
	;; [unrolled: 1-line block ×3, first 2 shown]
	v_fma_f32 v10, -v6, v19, 1.0
	v_fmac_f32_e32 v19, v10, v19
	v_mul_f32_e32 v10, v11, v19
	v_fma_f32 v21, -v6, v10, v11
	v_fmac_f32_e32 v10, v21, v19
	v_rcp_f32_e32 v21, v20
	v_mul_f32_e32 v16, v8, v16
	v_sub_f32_e32 v23, s20, v8
	v_fma_f32 v6, -v6, v10, v11
	v_mul_f32_e32 v7, v1, v1
	v_mul_f32_e32 v16, v23, v16
	v_div_fmas_f32 v6, v6, v19, v10
	v_fma_f32 v10, -v20, v21, 1.0
	v_div_scale_f32 v23, s[2:3], v7, v7, v16
	v_fmac_f32_e32 v21, v10, v21
	v_mul_f32_e32 v11, v22, v21
	v_fma_f32 v19, -v20, v11, v22
	v_fmac_f32_e32 v11, v19, v21
	v_fma_f32 v19, -v20, v11, v22
	s_mov_b64 vcc, s[0:1]
	v_div_fmas_f32 v11, v19, v21, v11
	v_mul_f32_e32 v21, s24, v8
	v_div_scale_f32 v10, s[2:3], v16, v7, v16
	v_mul_f32_e32 v20, 0x40400000, v4
	v_fma_f32 v21, s20, v12, -v21
	v_mul_f32_e32 v20, v20, v21
	v_div_scale_f32 v21, s[0:1], v1, v1, v20
	v_div_scale_f32 v24, s[0:1], v20, v1, v20
	v_rcp_f32_e32 v19, v23
	v_mul_f32_e64 v25, s20, s20
	v_mul_f32_e32 v18, s20, v18
	v_fma_f32 v26, -s20, v8, v25
	v_fma_f32 v22, -v23, v19, 1.0
	v_fmac_f32_e32 v19, v22, v19
	v_mul_f32_e32 v18, v8, v18
	v_mul_f32_e32 v22, v10, v19
	v_fma_f32 v27, -v23, v22, v10
	v_fmac_f32_e32 v22, v27, v19
	v_fmac_f32_e32 v26, v8, v8
	v_mul_f32_e32 v9, v1, v7
	v_rcp_f32_e32 v27, v21
	v_mul_f32_e32 v18, v26, v18
	v_fma_f32 v10, -v23, v22, v10
	s_mov_b64 vcc, s[2:3]
	v_div_scale_f32 v26, s[8:9], v9, v9, v18
	v_div_fmas_f32 v10, v10, v19, v22
	v_fma_f32 v19, -v21, v27, 1.0
	v_fmac_f32_e32 v27, v19, v27
	v_mul_f32_e32 v19, v24, v27
	v_fma_f32 v22, -v21, v19, v24
	v_fmac_f32_e32 v19, v22, v27
	v_fma_f32 v21, -v21, v19, v24
	s_mov_b64 vcc, s[0:1]
	v_div_fmas_f32 v19, v21, v27, v19
	v_mul_f32_e32 v21, v8, v8
	v_div_scale_f32 v23, vcc, v18, v9, v18
	v_mul_f32_e32 v21, s24, v21
	v_mul_f32_e32 v15, 0x40c00000, v15
	v_fmac_f32_e32 v21, v25, v12
	v_mul_f32_e32 v15, v15, v21
	v_div_scale_f32 v21, s[0:1], v7, v7, v15
	v_mul_f32_e32 v8, s25, v8
	v_rcp_f32_e32 v22, v26
	v_div_scale_f32 v25, s[0:1], v15, v7, v15
	v_mul_f32_e32 v4, 4.0, v4
	v_fma_f32 v8, s20, v13, -v8
	v_mul_f32_e32 v8, v4, v8
	v_div_scale_f32 v4, s[2:3], v1, v1, v8
	v_fma_f32 v24, -v26, v22, 1.0
	v_fmac_f32_e32 v22, v24, v22
	v_mul_f32_e32 v24, v23, v22
	v_fma_f32 v27, -v26, v24, v23
	v_fmac_f32_e32 v24, v27, v22
	v_div_scale_f32 v27, s[2:3], v8, v1, v8
	v_rcp_f32_e32 v28, v21
	v_fma_f32 v23, -v26, v24, v23
	v_div_fmas_f32 v22, v23, v22, v24
	s_mov_b64 vcc, s[0:1]
	v_fma_f32 v23, -v21, v28, 1.0
	v_fmac_f32_e32 v28, v23, v28
	v_mul_f32_e32 v23, v25, v28
	v_fma_f32 v24, -v21, v23, v25
	v_fmac_f32_e32 v23, v24, v28
	v_rcp_f32_e32 v24, v4
	v_fma_f32 v21, -v21, v23, v25
	v_div_fmas_f32 v21, v21, v28, v23
	s_mov_b64 vcc, s[2:3]
	v_fma_f32 v23, -v4, v24, 1.0
	v_fmac_f32_e32 v24, v23, v24
	v_mul_f32_e32 v23, v27, v24
	v_fma_f32 v25, -v4, v23, v27
	v_fmac_f32_e32 v23, v25, v24
	v_fma_f32 v4, -v4, v23, v27
	v_div_fmas_f32 v23, v4, v24, v23
	v_div_fixup_f32 v4, v6, v1, v5
	v_add_f32_e32 v5, s24, v12
	v_div_fixup_f32 v6, v11, v1, v17
	v_add_f32_e32 v5, v5, v6
	v_add_f32_e32 v6, s25, v13
	v_div_fixup_f32 v10, v10, v7, v16
	v_add_f32_e32 v6, v6, v10
	v_div_fixup_f32 v10, v19, v1, v20
	v_add_f32_e32 v6, v10, v6
	v_add_f32_e32 v10, s26, v14
	;; [unrolled: 5-line block ×3, first 2 shown]
	v_div_fixup_f32 v8, v23, v1, v8
	v_add_f32_e32 v7, v8, v7
.LBB31_57:
	s_mov_b64 s[28:29], exec
.LBB31_58:
	s_or_b64 exec, exec, s[4:5]
	s_and_b64 vcc, exec, s[12:13]
	s_cbranch_vccnz .LBB31_12
.LBB31_59:
	s_branch .LBB31_99
.LBB31_60:
                                        ; implicit-def: $vgpr8
                                        ; implicit-def: $vgpr10
                                        ; implicit-def: $vgpr12
                                        ; implicit-def: $vgpr14
	s_cbranch_execz .LBB31_86
; %bb.61:
	s_sub_i32 s2, s16, s12
	v_cmp_gt_u32_e32 vcc, s2, v0
                                        ; implicit-def: $vgpr11
	s_and_saveexec_b64 s[0:1], vcc
	s_cbranch_execz .LBB31_63
; %bb.62:
	s_waitcnt lgkmcnt(0)
	v_lshlrev_b32_e32 v1, 2, v0
	global_load_dword v11, v1, s[10:11]
.LBB31_63:
	s_or_b64 exec, exec, s[0:1]
	s_waitcnt lgkmcnt(0)
	v_or_b32_e32 v1, 0x100, v0
	v_cmp_gt_u32_e32 vcc, s2, v1
	v_mov_b32_e32 v8, 1.0
	v_mov_b32_e32 v14, 0
	v_mov_b32_e32 v13, 0
	;; [unrolled: 1-line block ×3, first 2 shown]
	s_waitcnt vmcnt(0)
	v_mov_b32_e32 v10, v11
	v_mov_b32_e32 v9, v11
	s_and_saveexec_b64 s[0:1], vcc
	s_cbranch_execz .LBB31_65
; %bb.64:
	v_lshlrev_b32_e32 v1, 2, v0
	global_load_dword v1, v1, s[10:11] offset:1024
	s_mov_b32 s4, 0x3e000000
	s_mov_b32 s3, 0x3e800000
	v_mov_b32_e32 v8, 2.0
	s_waitcnt vmcnt(0)
	v_cmp_lt_f32_e32 vcc, v1, v11
	v_sub_f32_e32 v2, v1, v11
	v_cndmask_b32_e32 v9, v11, v1, vcc
	v_cmp_lt_f32_e32 vcc, v11, v1
	v_cndmask_b32_e32 v10, v11, v1, vcc
	v_mul_f32_e32 v1, v2, v2
	v_mul_f32_e32 v5, v2, v1
	v_fmac_f32_e32 v11, 0.5, v2
	v_mul_f32_e32 v3, 0x40400000, v2
	v_mul_f32_e32 v4, 4.0, v2
	v_fma_f32 v12, v1, 0.5, 0
	v_mul_f32_e32 v1, 0x40c00000, v1
	v_mul_f32_e32 v2, v2, v5
	;; [unrolled: 1-line block ×4, first 2 shown]
	v_fma_f32 v14, v2, s4, 0
	v_mul_f32_e32 v3, 0, v3
	v_mul_f32_e32 v4, 0, v4
	v_fma_f32 v13, v5, s3, 0
	v_fmac_f32_e32 v14, 0x3e800000, v1
	v_fmac_f32_e32 v13, 0.5, v3
	v_fmac_f32_e32 v14, 0.5, v4
.LBB31_65:
	s_or_b64 exec, exec, s[0:1]
	v_mbcnt_lo_u32_b32 v1, -1, 0
	v_mbcnt_hi_u32_b32 v1, -1, v1
	v_and_b32_e32 v2, 63, v1
	v_cmp_ne_u32_e32 vcc, 63, v2
	v_addc_co_u32_e32 v3, vcc, 0, v1, vcc
	v_lshlrev_b32_e32 v3, 2, v3
	ds_bpermute_b32 v7, v3, v8
	ds_bpermute_b32 v16, v3, v9
	;; [unrolled: 1-line block ×7, first 2 shown]
	s_min_u32 s8, s2, 0x100
	v_and_b32_e32 v3, 0xc0, v0
	v_sub_u32_e64 v3, s8, v3 clamp
	v_add_u32_e32 v18, 1, v2
	v_cmp_lt_u32_e32 vcc, v18, v3
	s_and_saveexec_b64 s[0:1], vcc
	s_xor_b64 s[4:5], exec, s[0:1]
	s_cbranch_execz .LBB31_67
; %bb.66:
	s_waitcnt lgkmcnt(3)
	v_sub_f32_e32 v17, v17, v11
	v_add_f32_e32 v18, v8, v7
	v_mul_f32_e32 v19, v17, v7
	v_div_scale_f32 v20, s[0:1], v18, v18, v19
	v_cmp_gt_f32_e64 s[0:1], v9, v16
	v_cndmask_b32_e64 v9, v9, v16, s[0:1]
	v_mul_f32_e32 v16, v17, v17
	v_div_scale_f32 v21, vcc, v19, v18, v19
	v_mul_f32_e32 v23, v8, v16
	v_cmp_lt_f32_e64 s[0:1], v10, v15
	v_mul_f32_e32 v23, v23, v7
	v_cndmask_b32_e64 v10, v10, v15, s[0:1]
	v_div_scale_f32 v25, s[0:1], v18, v18, v23
	v_div_scale_f32 v30, s[0:1], v23, v18, v23
	v_mul_f32_e32 v26, v17, v16
	v_rcp_f32_e32 v24, v20
	v_mul_f32_e32 v27, v17, v26
	v_mul_f32_e32 v26, v8, v26
	;; [unrolled: 1-line block ×3, first 2 shown]
	v_fma_f32 v28, -v20, v24, 1.0
	v_fmac_f32_e32 v24, v28, v24
	v_mul_f32_e32 v28, v21, v24
	v_fma_f32 v29, -v20, v28, v21
	v_fmac_f32_e32 v28, v29, v24
	v_sub_f32_e32 v31, v8, v7
	v_mul_f32_e32 v15, v18, v18
	v_rcp_f32_e32 v29, v25
	v_mul_f32_e32 v26, v31, v26
	v_fma_f32 v20, -v20, v28, v21
	v_div_scale_f32 v31, s[2:3], v15, v15, v26
	v_fma_f32 v21, -v25, v29, 1.0
	v_fmac_f32_e32 v29, v21, v29
	v_div_fmas_f32 v20, v20, v24, v28
	v_mul_f32_e32 v24, v30, v29
	v_fma_f32 v28, -v25, v24, v30
	v_fmac_f32_e32 v24, v28, v29
	v_fma_f32 v25, -v25, v24, v30
	s_mov_b64 vcc, s[0:1]
	v_div_fmas_f32 v24, v25, v29, v24
	v_mul_f32_e32 v29, v12, v7
	v_div_scale_f32 v21, s[2:3], v26, v15, v26
	v_mul_f32_e32 v28, 0x40400000, v17
	s_waitcnt lgkmcnt(2)
	v_fma_f32 v29, v8, v6, -v29
	v_mul_f32_e32 v28, v28, v29
	v_div_scale_f32 v29, s[0:1], v18, v18, v28
	v_div_scale_f32 v32, s[0:1], v28, v18, v28
	v_rcp_f32_e32 v25, v31
	v_mul_f32_e32 v33, v8, v8
	v_mul_f32_e32 v27, v8, v27
	v_fma_f32 v34, -v8, v7, v33
	v_fma_f32 v30, -v31, v25, 1.0
	v_fmac_f32_e32 v25, v30, v25
	v_mul_f32_e32 v27, v27, v7
	v_mul_f32_e32 v30, v21, v25
	v_fma_f32 v35, -v31, v30, v21
	v_fmac_f32_e32 v30, v35, v25
	v_fmac_f32_e32 v34, v7, v7
	v_mul_f32_e32 v22, v18, v15
	v_rcp_f32_e32 v35, v29
	v_mul_f32_e32 v27, v34, v27
	v_fma_f32 v21, -v31, v30, v21
	s_mov_b64 vcc, s[2:3]
	v_div_scale_f32 v34, s[10:11], v22, v22, v27
	v_div_fmas_f32 v21, v21, v25, v30
	v_fma_f32 v25, -v29, v35, 1.0
	v_fmac_f32_e32 v35, v25, v35
	v_mul_f32_e32 v25, v32, v35
	v_fma_f32 v30, -v29, v25, v32
	v_fmac_f32_e32 v25, v30, v35
	v_fma_f32 v29, -v29, v25, v32
	s_mov_b64 vcc, s[0:1]
	v_div_fmas_f32 v25, v29, v35, v25
	v_div_scale_f32 v31, vcc, v27, v22, v27
	v_mul_f32_e32 v29, v7, v7
	v_mul_f32_e32 v32, v33, v6
	;; [unrolled: 1-line block ×3, first 2 shown]
	v_fmac_f32_e32 v32, v12, v29
	v_mul_f32_e32 v16, v16, v32
	v_div_scale_f32 v29, s[0:1], v15, v15, v16
	v_mul_f32_e32 v7, v13, v7
	v_rcp_f32_e32 v30, v34
	v_div_scale_f32 v33, s[0:1], v16, v15, v16
	v_mul_f32_e32 v17, 4.0, v17
	s_waitcnt lgkmcnt(1)
	v_fma_f32 v7, v8, v5, -v7
	v_mul_f32_e32 v7, v17, v7
	v_div_scale_f32 v8, s[2:3], v18, v18, v7
	v_fma_f32 v32, -v34, v30, 1.0
	v_fmac_f32_e32 v30, v32, v30
	v_mul_f32_e32 v17, v31, v30
	v_fma_f32 v32, -v34, v17, v31
	v_fmac_f32_e32 v17, v32, v30
	v_div_scale_f32 v32, s[2:3], v7, v18, v7
	v_rcp_f32_e32 v35, v29
	v_fma_f32 v31, -v34, v17, v31
	v_div_fmas_f32 v17, v31, v30, v17
	s_mov_b64 vcc, s[0:1]
	v_fma_f32 v30, -v29, v35, 1.0
	v_fmac_f32_e32 v35, v30, v35
	v_mul_f32_e32 v30, v33, v35
	v_fma_f32 v31, -v29, v30, v33
	v_fmac_f32_e32 v30, v31, v35
	v_rcp_f32_e32 v31, v8
	v_fma_f32 v29, -v29, v30, v33
	v_div_fmas_f32 v29, v29, v35, v30
	s_mov_b64 vcc, s[2:3]
	v_fma_f32 v30, -v8, v31, 1.0
	v_fmac_f32_e32 v31, v30, v31
	v_mul_f32_e32 v30, v32, v31
	v_fma_f32 v33, -v8, v30, v32
	v_fmac_f32_e32 v30, v33, v31
	v_fma_f32 v8, -v8, v30, v32
	v_div_fmas_f32 v8, v8, v31, v30
	v_add_f32_e32 v6, v12, v6
	v_div_fixup_f32 v12, v24, v18, v23
	v_add_f32_e32 v6, v6, v12
	v_add_f32_e32 v5, v13, v5
	v_div_fixup_f32 v12, v21, v15, v26
	v_add_f32_e32 v5, v5, v12
	v_div_fixup_f32 v12, v25, v18, v28
	v_add_f32_e32 v13, v12, v5
	s_waitcnt lgkmcnt(0)
	v_add_f32_e32 v4, v14, v4
	v_div_fixup_f32 v12, v17, v22, v27
	v_add_f32_e32 v4, v4, v12
	v_div_fixup_f32 v12, v29, v15, v16
	v_div_fixup_f32 v19, v20, v18, v19
	v_add_f32_e32 v4, v12, v4
	v_add_f32_e32 v11, v11, v19
	v_div_fixup_f32 v7, v8, v18, v7
	v_add_f32_e32 v14, v7, v4
	v_mov_b32_e32 v12, v6
	v_mov_b32_e32 v8, v18
.LBB31_67:
	s_or_b64 exec, exec, s[4:5]
	v_cmp_gt_u32_e32 vcc, 62, v2
	s_waitcnt lgkmcnt(0)
	v_cndmask_b32_e64 v4, 0, 2, vcc
	v_add_lshl_u32 v4, v4, v1, 2
	ds_bpermute_b32 v7, v4, v8
	ds_bpermute_b32 v16, v4, v9
	ds_bpermute_b32 v15, v4, v10
	ds_bpermute_b32 v17, v4, v11
	ds_bpermute_b32 v6, v4, v12
	ds_bpermute_b32 v5, v4, v13
	ds_bpermute_b32 v4, v4, v14
	v_add_u32_e32 v18, 2, v2
	v_cmp_lt_u32_e32 vcc, v18, v3
	s_and_saveexec_b64 s[4:5], vcc
	s_cbranch_execz .LBB31_69
; %bb.68:
	s_waitcnt lgkmcnt(3)
	v_sub_f32_e32 v17, v17, v11
	v_add_f32_e32 v18, v8, v7
	v_mul_f32_e32 v19, v17, v7
	v_div_scale_f32 v20, s[0:1], v18, v18, v19
	v_cmp_gt_f32_e64 s[0:1], v9, v16
	v_cndmask_b32_e64 v9, v9, v16, s[0:1]
	v_mul_f32_e32 v16, v17, v17
	v_div_scale_f32 v21, vcc, v19, v18, v19
	v_mul_f32_e32 v23, v8, v16
	v_cmp_lt_f32_e64 s[0:1], v10, v15
	v_mul_f32_e32 v23, v23, v7
	v_cndmask_b32_e64 v10, v10, v15, s[0:1]
	v_div_scale_f32 v25, s[0:1], v18, v18, v23
	v_div_scale_f32 v30, s[0:1], v23, v18, v23
	v_mul_f32_e32 v26, v17, v16
	v_rcp_f32_e32 v24, v20
	v_mul_f32_e32 v27, v17, v26
	v_mul_f32_e32 v26, v8, v26
	;; [unrolled: 1-line block ×3, first 2 shown]
	v_fma_f32 v28, -v20, v24, 1.0
	v_fmac_f32_e32 v24, v28, v24
	v_mul_f32_e32 v28, v21, v24
	v_fma_f32 v29, -v20, v28, v21
	v_fmac_f32_e32 v28, v29, v24
	v_sub_f32_e32 v31, v8, v7
	v_mul_f32_e32 v15, v18, v18
	v_rcp_f32_e32 v29, v25
	v_mul_f32_e32 v26, v31, v26
	v_fma_f32 v20, -v20, v28, v21
	v_div_scale_f32 v31, s[2:3], v15, v15, v26
	v_fma_f32 v21, -v25, v29, 1.0
	v_fmac_f32_e32 v29, v21, v29
	v_div_fmas_f32 v20, v20, v24, v28
	v_mul_f32_e32 v24, v30, v29
	v_fma_f32 v28, -v25, v24, v30
	v_fmac_f32_e32 v24, v28, v29
	v_fma_f32 v25, -v25, v24, v30
	s_mov_b64 vcc, s[0:1]
	v_div_fmas_f32 v24, v25, v29, v24
	v_mul_f32_e32 v29, v12, v7
	v_div_scale_f32 v21, s[2:3], v26, v15, v26
	v_mul_f32_e32 v28, 0x40400000, v17
	s_waitcnt lgkmcnt(2)
	v_fma_f32 v29, v8, v6, -v29
	v_mul_f32_e32 v28, v28, v29
	v_div_scale_f32 v29, s[0:1], v18, v18, v28
	v_div_scale_f32 v32, s[0:1], v28, v18, v28
	v_rcp_f32_e32 v25, v31
	v_mul_f32_e32 v33, v8, v8
	v_mul_f32_e32 v27, v8, v27
	v_fma_f32 v34, -v8, v7, v33
	v_fma_f32 v30, -v31, v25, 1.0
	v_fmac_f32_e32 v25, v30, v25
	v_mul_f32_e32 v27, v27, v7
	v_mul_f32_e32 v30, v21, v25
	v_fma_f32 v35, -v31, v30, v21
	v_fmac_f32_e32 v30, v35, v25
	v_fmac_f32_e32 v34, v7, v7
	v_mul_f32_e32 v22, v18, v15
	v_rcp_f32_e32 v35, v29
	v_mul_f32_e32 v27, v34, v27
	v_fma_f32 v21, -v31, v30, v21
	s_mov_b64 vcc, s[2:3]
	v_div_scale_f32 v34, s[10:11], v22, v22, v27
	v_div_fmas_f32 v21, v21, v25, v30
	v_fma_f32 v25, -v29, v35, 1.0
	v_fmac_f32_e32 v35, v25, v35
	v_mul_f32_e32 v25, v32, v35
	v_fma_f32 v30, -v29, v25, v32
	v_fmac_f32_e32 v25, v30, v35
	v_fma_f32 v29, -v29, v25, v32
	s_mov_b64 vcc, s[0:1]
	v_div_fmas_f32 v25, v29, v35, v25
	v_div_scale_f32 v31, vcc, v27, v22, v27
	v_mul_f32_e32 v29, v7, v7
	v_mul_f32_e32 v32, v33, v6
	;; [unrolled: 1-line block ×3, first 2 shown]
	v_fmac_f32_e32 v32, v12, v29
	v_mul_f32_e32 v16, v16, v32
	v_div_scale_f32 v29, s[0:1], v15, v15, v16
	v_mul_f32_e32 v7, v13, v7
	v_rcp_f32_e32 v30, v34
	v_div_scale_f32 v33, s[0:1], v16, v15, v16
	v_mul_f32_e32 v17, 4.0, v17
	s_waitcnt lgkmcnt(1)
	v_fma_f32 v7, v8, v5, -v7
	v_mul_f32_e32 v7, v17, v7
	v_div_scale_f32 v8, s[2:3], v18, v18, v7
	v_fma_f32 v32, -v34, v30, 1.0
	v_fmac_f32_e32 v30, v32, v30
	v_mul_f32_e32 v17, v31, v30
	v_fma_f32 v32, -v34, v17, v31
	v_fmac_f32_e32 v17, v32, v30
	v_div_scale_f32 v32, s[2:3], v7, v18, v7
	v_rcp_f32_e32 v35, v29
	v_fma_f32 v31, -v34, v17, v31
	v_div_fmas_f32 v17, v31, v30, v17
	s_mov_b64 vcc, s[0:1]
	v_fma_f32 v30, -v29, v35, 1.0
	v_fmac_f32_e32 v35, v30, v35
	v_mul_f32_e32 v30, v33, v35
	v_fma_f32 v31, -v29, v30, v33
	v_fmac_f32_e32 v30, v31, v35
	v_rcp_f32_e32 v31, v8
	v_fma_f32 v29, -v29, v30, v33
	v_div_fmas_f32 v29, v29, v35, v30
	s_mov_b64 vcc, s[2:3]
	v_fma_f32 v30, -v8, v31, 1.0
	v_fmac_f32_e32 v31, v30, v31
	v_mul_f32_e32 v30, v32, v31
	v_fma_f32 v33, -v8, v30, v32
	v_fmac_f32_e32 v30, v33, v31
	v_fma_f32 v8, -v8, v30, v32
	v_div_fmas_f32 v8, v8, v31, v30
	v_add_f32_e32 v6, v12, v6
	v_div_fixup_f32 v12, v24, v18, v23
	v_add_f32_e32 v6, v6, v12
	v_add_f32_e32 v5, v13, v5
	v_div_fixup_f32 v12, v21, v15, v26
	v_add_f32_e32 v5, v5, v12
	v_div_fixup_f32 v12, v25, v18, v28
	v_add_f32_e32 v13, v12, v5
	s_waitcnt lgkmcnt(0)
	v_add_f32_e32 v4, v14, v4
	v_div_fixup_f32 v12, v17, v22, v27
	v_add_f32_e32 v4, v4, v12
	v_div_fixup_f32 v12, v29, v15, v16
	v_div_fixup_f32 v19, v20, v18, v19
	v_add_f32_e32 v4, v12, v4
	v_add_f32_e32 v11, v11, v19
	v_div_fixup_f32 v7, v8, v18, v7
	v_add_f32_e32 v14, v7, v4
	v_mov_b32_e32 v12, v6
	v_mov_b32_e32 v8, v18
.LBB31_69:
	s_or_b64 exec, exec, s[4:5]
	v_cmp_gt_u32_e32 vcc, 60, v2
	s_waitcnt lgkmcnt(0)
	v_cndmask_b32_e64 v4, 0, 4, vcc
	v_add_lshl_u32 v4, v4, v1, 2
	ds_bpermute_b32 v7, v4, v8
	ds_bpermute_b32 v16, v4, v9
	;; [unrolled: 1-line block ×7, first 2 shown]
	v_add_u32_e32 v18, 4, v2
	v_cmp_lt_u32_e32 vcc, v18, v3
	s_and_saveexec_b64 s[4:5], vcc
	s_cbranch_execz .LBB31_71
; %bb.70:
	s_waitcnt lgkmcnt(3)
	v_sub_f32_e32 v17, v17, v11
	v_add_f32_e32 v18, v8, v7
	v_mul_f32_e32 v19, v17, v7
	v_div_scale_f32 v20, s[0:1], v18, v18, v19
	v_cmp_gt_f32_e64 s[0:1], v9, v16
	v_cndmask_b32_e64 v9, v9, v16, s[0:1]
	v_mul_f32_e32 v16, v17, v17
	v_div_scale_f32 v21, vcc, v19, v18, v19
	v_mul_f32_e32 v23, v8, v16
	v_cmp_lt_f32_e64 s[0:1], v10, v15
	v_mul_f32_e32 v23, v23, v7
	v_cndmask_b32_e64 v10, v10, v15, s[0:1]
	v_div_scale_f32 v25, s[0:1], v18, v18, v23
	v_div_scale_f32 v30, s[0:1], v23, v18, v23
	v_mul_f32_e32 v26, v17, v16
	v_rcp_f32_e32 v24, v20
	v_mul_f32_e32 v27, v17, v26
	v_mul_f32_e32 v26, v8, v26
	;; [unrolled: 1-line block ×3, first 2 shown]
	v_fma_f32 v28, -v20, v24, 1.0
	v_fmac_f32_e32 v24, v28, v24
	v_mul_f32_e32 v28, v21, v24
	v_fma_f32 v29, -v20, v28, v21
	v_fmac_f32_e32 v28, v29, v24
	v_sub_f32_e32 v31, v8, v7
	v_mul_f32_e32 v15, v18, v18
	v_rcp_f32_e32 v29, v25
	v_mul_f32_e32 v26, v31, v26
	v_fma_f32 v20, -v20, v28, v21
	v_div_scale_f32 v31, s[2:3], v15, v15, v26
	v_fma_f32 v21, -v25, v29, 1.0
	v_fmac_f32_e32 v29, v21, v29
	v_div_fmas_f32 v20, v20, v24, v28
	v_mul_f32_e32 v24, v30, v29
	v_fma_f32 v28, -v25, v24, v30
	v_fmac_f32_e32 v24, v28, v29
	v_fma_f32 v25, -v25, v24, v30
	s_mov_b64 vcc, s[0:1]
	v_div_fmas_f32 v24, v25, v29, v24
	v_mul_f32_e32 v29, v12, v7
	v_div_scale_f32 v21, s[2:3], v26, v15, v26
	v_mul_f32_e32 v28, 0x40400000, v17
	s_waitcnt lgkmcnt(2)
	v_fma_f32 v29, v8, v6, -v29
	v_mul_f32_e32 v28, v28, v29
	v_div_scale_f32 v29, s[0:1], v18, v18, v28
	v_div_scale_f32 v32, s[0:1], v28, v18, v28
	v_rcp_f32_e32 v25, v31
	v_mul_f32_e32 v33, v8, v8
	v_mul_f32_e32 v27, v8, v27
	v_fma_f32 v34, -v8, v7, v33
	v_fma_f32 v30, -v31, v25, 1.0
	v_fmac_f32_e32 v25, v30, v25
	v_mul_f32_e32 v27, v27, v7
	v_mul_f32_e32 v30, v21, v25
	v_fma_f32 v35, -v31, v30, v21
	v_fmac_f32_e32 v30, v35, v25
	v_fmac_f32_e32 v34, v7, v7
	v_mul_f32_e32 v22, v18, v15
	v_rcp_f32_e32 v35, v29
	v_mul_f32_e32 v27, v34, v27
	v_fma_f32 v21, -v31, v30, v21
	s_mov_b64 vcc, s[2:3]
	v_div_scale_f32 v34, s[10:11], v22, v22, v27
	v_div_fmas_f32 v21, v21, v25, v30
	v_fma_f32 v25, -v29, v35, 1.0
	v_fmac_f32_e32 v35, v25, v35
	v_mul_f32_e32 v25, v32, v35
	v_fma_f32 v30, -v29, v25, v32
	v_fmac_f32_e32 v25, v30, v35
	v_fma_f32 v29, -v29, v25, v32
	s_mov_b64 vcc, s[0:1]
	v_div_fmas_f32 v25, v29, v35, v25
	v_div_scale_f32 v31, vcc, v27, v22, v27
	v_mul_f32_e32 v29, v7, v7
	v_mul_f32_e32 v32, v33, v6
	;; [unrolled: 1-line block ×3, first 2 shown]
	v_fmac_f32_e32 v32, v12, v29
	v_mul_f32_e32 v16, v16, v32
	v_div_scale_f32 v29, s[0:1], v15, v15, v16
	v_mul_f32_e32 v7, v13, v7
	v_rcp_f32_e32 v30, v34
	v_div_scale_f32 v33, s[0:1], v16, v15, v16
	v_mul_f32_e32 v17, 4.0, v17
	s_waitcnt lgkmcnt(1)
	v_fma_f32 v7, v8, v5, -v7
	v_mul_f32_e32 v7, v17, v7
	v_div_scale_f32 v8, s[2:3], v18, v18, v7
	v_fma_f32 v32, -v34, v30, 1.0
	v_fmac_f32_e32 v30, v32, v30
	v_mul_f32_e32 v17, v31, v30
	v_fma_f32 v32, -v34, v17, v31
	v_fmac_f32_e32 v17, v32, v30
	v_div_scale_f32 v32, s[2:3], v7, v18, v7
	v_rcp_f32_e32 v35, v29
	v_fma_f32 v31, -v34, v17, v31
	v_div_fmas_f32 v17, v31, v30, v17
	s_mov_b64 vcc, s[0:1]
	v_fma_f32 v30, -v29, v35, 1.0
	v_fmac_f32_e32 v35, v30, v35
	v_mul_f32_e32 v30, v33, v35
	v_fma_f32 v31, -v29, v30, v33
	v_fmac_f32_e32 v30, v31, v35
	v_rcp_f32_e32 v31, v8
	v_fma_f32 v29, -v29, v30, v33
	v_div_fmas_f32 v29, v29, v35, v30
	s_mov_b64 vcc, s[2:3]
	v_fma_f32 v30, -v8, v31, 1.0
	v_fmac_f32_e32 v31, v30, v31
	v_mul_f32_e32 v30, v32, v31
	v_fma_f32 v33, -v8, v30, v32
	v_fmac_f32_e32 v30, v33, v31
	v_fma_f32 v8, -v8, v30, v32
	v_div_fmas_f32 v8, v8, v31, v30
	v_add_f32_e32 v6, v12, v6
	v_div_fixup_f32 v12, v24, v18, v23
	v_add_f32_e32 v6, v6, v12
	v_add_f32_e32 v5, v13, v5
	v_div_fixup_f32 v12, v21, v15, v26
	v_add_f32_e32 v5, v5, v12
	v_div_fixup_f32 v12, v25, v18, v28
	v_add_f32_e32 v13, v12, v5
	s_waitcnt lgkmcnt(0)
	v_add_f32_e32 v4, v14, v4
	v_div_fixup_f32 v12, v17, v22, v27
	v_add_f32_e32 v4, v4, v12
	v_div_fixup_f32 v12, v29, v15, v16
	v_div_fixup_f32 v19, v20, v18, v19
	v_add_f32_e32 v4, v12, v4
	v_add_f32_e32 v11, v11, v19
	v_div_fixup_f32 v7, v8, v18, v7
	v_add_f32_e32 v14, v7, v4
	v_mov_b32_e32 v12, v6
	v_mov_b32_e32 v8, v18
.LBB31_71:
	s_or_b64 exec, exec, s[4:5]
	v_cmp_gt_u32_e32 vcc, 56, v2
	s_waitcnt lgkmcnt(0)
	v_cndmask_b32_e64 v4, 0, 8, vcc
	v_add_lshl_u32 v4, v4, v1, 2
	ds_bpermute_b32 v7, v4, v8
	ds_bpermute_b32 v16, v4, v9
	;; [unrolled: 1-line block ×7, first 2 shown]
	v_add_u32_e32 v18, 8, v2
	v_cmp_lt_u32_e32 vcc, v18, v3
	s_and_saveexec_b64 s[4:5], vcc
	s_cbranch_execz .LBB31_73
; %bb.72:
	s_waitcnt lgkmcnt(3)
	v_sub_f32_e32 v17, v17, v11
	v_add_f32_e32 v18, v8, v7
	v_mul_f32_e32 v19, v17, v7
	v_div_scale_f32 v20, s[0:1], v18, v18, v19
	v_cmp_gt_f32_e64 s[0:1], v9, v16
	v_cndmask_b32_e64 v9, v9, v16, s[0:1]
	v_mul_f32_e32 v16, v17, v17
	v_div_scale_f32 v21, vcc, v19, v18, v19
	v_mul_f32_e32 v23, v8, v16
	v_cmp_lt_f32_e64 s[0:1], v10, v15
	v_mul_f32_e32 v23, v23, v7
	v_cndmask_b32_e64 v10, v10, v15, s[0:1]
	v_div_scale_f32 v25, s[0:1], v18, v18, v23
	v_div_scale_f32 v30, s[0:1], v23, v18, v23
	v_mul_f32_e32 v26, v17, v16
	v_rcp_f32_e32 v24, v20
	v_mul_f32_e32 v27, v17, v26
	v_mul_f32_e32 v26, v8, v26
	;; [unrolled: 1-line block ×3, first 2 shown]
	v_fma_f32 v28, -v20, v24, 1.0
	v_fmac_f32_e32 v24, v28, v24
	v_mul_f32_e32 v28, v21, v24
	v_fma_f32 v29, -v20, v28, v21
	v_fmac_f32_e32 v28, v29, v24
	v_sub_f32_e32 v31, v8, v7
	v_mul_f32_e32 v15, v18, v18
	v_rcp_f32_e32 v29, v25
	v_mul_f32_e32 v26, v31, v26
	v_fma_f32 v20, -v20, v28, v21
	v_div_scale_f32 v31, s[2:3], v15, v15, v26
	v_fma_f32 v21, -v25, v29, 1.0
	v_fmac_f32_e32 v29, v21, v29
	v_div_fmas_f32 v20, v20, v24, v28
	v_mul_f32_e32 v24, v30, v29
	v_fma_f32 v28, -v25, v24, v30
	v_fmac_f32_e32 v24, v28, v29
	v_fma_f32 v25, -v25, v24, v30
	s_mov_b64 vcc, s[0:1]
	v_div_fmas_f32 v24, v25, v29, v24
	v_mul_f32_e32 v29, v12, v7
	v_div_scale_f32 v21, s[2:3], v26, v15, v26
	v_mul_f32_e32 v28, 0x40400000, v17
	s_waitcnt lgkmcnt(2)
	v_fma_f32 v29, v8, v6, -v29
	v_mul_f32_e32 v28, v28, v29
	v_div_scale_f32 v29, s[0:1], v18, v18, v28
	v_div_scale_f32 v32, s[0:1], v28, v18, v28
	v_rcp_f32_e32 v25, v31
	v_mul_f32_e32 v33, v8, v8
	v_mul_f32_e32 v27, v8, v27
	v_fma_f32 v34, -v8, v7, v33
	v_fma_f32 v30, -v31, v25, 1.0
	v_fmac_f32_e32 v25, v30, v25
	v_mul_f32_e32 v27, v27, v7
	v_mul_f32_e32 v30, v21, v25
	v_fma_f32 v35, -v31, v30, v21
	v_fmac_f32_e32 v30, v35, v25
	v_fmac_f32_e32 v34, v7, v7
	v_mul_f32_e32 v22, v18, v15
	v_rcp_f32_e32 v35, v29
	v_mul_f32_e32 v27, v34, v27
	v_fma_f32 v21, -v31, v30, v21
	s_mov_b64 vcc, s[2:3]
	v_div_scale_f32 v34, s[10:11], v22, v22, v27
	v_div_fmas_f32 v21, v21, v25, v30
	v_fma_f32 v25, -v29, v35, 1.0
	v_fmac_f32_e32 v35, v25, v35
	v_mul_f32_e32 v25, v32, v35
	v_fma_f32 v30, -v29, v25, v32
	v_fmac_f32_e32 v25, v30, v35
	v_fma_f32 v29, -v29, v25, v32
	s_mov_b64 vcc, s[0:1]
	v_div_fmas_f32 v25, v29, v35, v25
	v_div_scale_f32 v31, vcc, v27, v22, v27
	v_mul_f32_e32 v29, v7, v7
	v_mul_f32_e32 v32, v33, v6
	;; [unrolled: 1-line block ×3, first 2 shown]
	v_fmac_f32_e32 v32, v12, v29
	v_mul_f32_e32 v16, v16, v32
	v_div_scale_f32 v29, s[0:1], v15, v15, v16
	v_mul_f32_e32 v7, v13, v7
	v_rcp_f32_e32 v30, v34
	v_div_scale_f32 v33, s[0:1], v16, v15, v16
	v_mul_f32_e32 v17, 4.0, v17
	s_waitcnt lgkmcnt(1)
	v_fma_f32 v7, v8, v5, -v7
	v_mul_f32_e32 v7, v17, v7
	v_div_scale_f32 v8, s[2:3], v18, v18, v7
	v_fma_f32 v32, -v34, v30, 1.0
	v_fmac_f32_e32 v30, v32, v30
	v_mul_f32_e32 v17, v31, v30
	v_fma_f32 v32, -v34, v17, v31
	v_fmac_f32_e32 v17, v32, v30
	v_div_scale_f32 v32, s[2:3], v7, v18, v7
	v_rcp_f32_e32 v35, v29
	v_fma_f32 v31, -v34, v17, v31
	v_div_fmas_f32 v17, v31, v30, v17
	s_mov_b64 vcc, s[0:1]
	v_fma_f32 v30, -v29, v35, 1.0
	v_fmac_f32_e32 v35, v30, v35
	v_mul_f32_e32 v30, v33, v35
	v_fma_f32 v31, -v29, v30, v33
	v_fmac_f32_e32 v30, v31, v35
	v_rcp_f32_e32 v31, v8
	v_fma_f32 v29, -v29, v30, v33
	v_div_fmas_f32 v29, v29, v35, v30
	s_mov_b64 vcc, s[2:3]
	v_fma_f32 v30, -v8, v31, 1.0
	v_fmac_f32_e32 v31, v30, v31
	v_mul_f32_e32 v30, v32, v31
	v_fma_f32 v33, -v8, v30, v32
	v_fmac_f32_e32 v30, v33, v31
	v_fma_f32 v8, -v8, v30, v32
	v_div_fmas_f32 v8, v8, v31, v30
	v_add_f32_e32 v6, v12, v6
	v_div_fixup_f32 v12, v24, v18, v23
	v_add_f32_e32 v6, v6, v12
	v_add_f32_e32 v5, v13, v5
	v_div_fixup_f32 v12, v21, v15, v26
	v_add_f32_e32 v5, v5, v12
	v_div_fixup_f32 v12, v25, v18, v28
	v_add_f32_e32 v13, v12, v5
	s_waitcnt lgkmcnt(0)
	v_add_f32_e32 v4, v14, v4
	v_div_fixup_f32 v12, v17, v22, v27
	v_add_f32_e32 v4, v4, v12
	v_div_fixup_f32 v12, v29, v15, v16
	v_div_fixup_f32 v19, v20, v18, v19
	v_add_f32_e32 v4, v12, v4
	v_add_f32_e32 v11, v11, v19
	v_div_fixup_f32 v7, v8, v18, v7
	v_add_f32_e32 v14, v7, v4
	v_mov_b32_e32 v12, v6
	v_mov_b32_e32 v8, v18
.LBB31_73:
	s_or_b64 exec, exec, s[4:5]
	v_cmp_gt_u32_e32 vcc, 48, v2
	s_waitcnt lgkmcnt(0)
	v_cndmask_b32_e64 v4, 0, 16, vcc
	v_add_lshl_u32 v4, v4, v1, 2
	ds_bpermute_b32 v7, v4, v8
	ds_bpermute_b32 v16, v4, v9
	;; [unrolled: 1-line block ×7, first 2 shown]
	v_add_u32_e32 v18, 16, v2
	v_cmp_lt_u32_e32 vcc, v18, v3
	s_and_saveexec_b64 s[4:5], vcc
	s_cbranch_execz .LBB31_75
; %bb.74:
	s_waitcnt lgkmcnt(3)
	v_sub_f32_e32 v17, v17, v11
	v_add_f32_e32 v18, v8, v7
	v_mul_f32_e32 v19, v17, v7
	v_div_scale_f32 v20, s[0:1], v18, v18, v19
	v_cmp_gt_f32_e64 s[0:1], v9, v16
	v_cndmask_b32_e64 v9, v9, v16, s[0:1]
	v_mul_f32_e32 v16, v17, v17
	v_div_scale_f32 v21, vcc, v19, v18, v19
	v_mul_f32_e32 v23, v8, v16
	v_cmp_lt_f32_e64 s[0:1], v10, v15
	v_mul_f32_e32 v23, v23, v7
	v_cndmask_b32_e64 v10, v10, v15, s[0:1]
	v_div_scale_f32 v25, s[0:1], v18, v18, v23
	v_div_scale_f32 v30, s[0:1], v23, v18, v23
	v_mul_f32_e32 v26, v17, v16
	v_rcp_f32_e32 v24, v20
	v_mul_f32_e32 v27, v17, v26
	v_mul_f32_e32 v26, v8, v26
	v_mul_f32_e32 v26, v26, v7
	v_fma_f32 v28, -v20, v24, 1.0
	v_fmac_f32_e32 v24, v28, v24
	v_mul_f32_e32 v28, v21, v24
	v_fma_f32 v29, -v20, v28, v21
	v_fmac_f32_e32 v28, v29, v24
	v_sub_f32_e32 v31, v8, v7
	v_mul_f32_e32 v15, v18, v18
	v_rcp_f32_e32 v29, v25
	v_mul_f32_e32 v26, v31, v26
	v_fma_f32 v20, -v20, v28, v21
	v_div_scale_f32 v31, s[2:3], v15, v15, v26
	v_fma_f32 v21, -v25, v29, 1.0
	v_fmac_f32_e32 v29, v21, v29
	v_div_fmas_f32 v20, v20, v24, v28
	v_mul_f32_e32 v24, v30, v29
	v_fma_f32 v28, -v25, v24, v30
	v_fmac_f32_e32 v24, v28, v29
	v_fma_f32 v25, -v25, v24, v30
	s_mov_b64 vcc, s[0:1]
	v_div_fmas_f32 v24, v25, v29, v24
	v_mul_f32_e32 v29, v12, v7
	v_div_scale_f32 v21, s[2:3], v26, v15, v26
	v_mul_f32_e32 v28, 0x40400000, v17
	s_waitcnt lgkmcnt(2)
	v_fma_f32 v29, v8, v6, -v29
	v_mul_f32_e32 v28, v28, v29
	v_div_scale_f32 v29, s[0:1], v18, v18, v28
	v_div_scale_f32 v32, s[0:1], v28, v18, v28
	v_rcp_f32_e32 v25, v31
	v_mul_f32_e32 v33, v8, v8
	v_mul_f32_e32 v27, v8, v27
	v_fma_f32 v34, -v8, v7, v33
	v_fma_f32 v30, -v31, v25, 1.0
	v_fmac_f32_e32 v25, v30, v25
	v_mul_f32_e32 v27, v27, v7
	v_mul_f32_e32 v30, v21, v25
	v_fma_f32 v35, -v31, v30, v21
	v_fmac_f32_e32 v30, v35, v25
	v_fmac_f32_e32 v34, v7, v7
	v_mul_f32_e32 v22, v18, v15
	v_rcp_f32_e32 v35, v29
	v_mul_f32_e32 v27, v34, v27
	v_fma_f32 v21, -v31, v30, v21
	s_mov_b64 vcc, s[2:3]
	v_div_scale_f32 v34, s[10:11], v22, v22, v27
	v_div_fmas_f32 v21, v21, v25, v30
	v_fma_f32 v25, -v29, v35, 1.0
	v_fmac_f32_e32 v35, v25, v35
	v_mul_f32_e32 v25, v32, v35
	v_fma_f32 v30, -v29, v25, v32
	v_fmac_f32_e32 v25, v30, v35
	v_fma_f32 v29, -v29, v25, v32
	s_mov_b64 vcc, s[0:1]
	v_div_fmas_f32 v25, v29, v35, v25
	v_div_scale_f32 v31, vcc, v27, v22, v27
	v_mul_f32_e32 v29, v7, v7
	v_mul_f32_e32 v32, v33, v6
	;; [unrolled: 1-line block ×3, first 2 shown]
	v_fmac_f32_e32 v32, v12, v29
	v_mul_f32_e32 v16, v16, v32
	v_div_scale_f32 v29, s[0:1], v15, v15, v16
	v_mul_f32_e32 v7, v13, v7
	v_rcp_f32_e32 v30, v34
	v_div_scale_f32 v33, s[0:1], v16, v15, v16
	v_mul_f32_e32 v17, 4.0, v17
	s_waitcnt lgkmcnt(1)
	v_fma_f32 v7, v8, v5, -v7
	v_mul_f32_e32 v7, v17, v7
	v_div_scale_f32 v8, s[2:3], v18, v18, v7
	v_fma_f32 v32, -v34, v30, 1.0
	v_fmac_f32_e32 v30, v32, v30
	v_mul_f32_e32 v17, v31, v30
	v_fma_f32 v32, -v34, v17, v31
	v_fmac_f32_e32 v17, v32, v30
	v_div_scale_f32 v32, s[2:3], v7, v18, v7
	v_rcp_f32_e32 v35, v29
	v_fma_f32 v31, -v34, v17, v31
	v_div_fmas_f32 v17, v31, v30, v17
	s_mov_b64 vcc, s[0:1]
	v_fma_f32 v30, -v29, v35, 1.0
	v_fmac_f32_e32 v35, v30, v35
	v_mul_f32_e32 v30, v33, v35
	v_fma_f32 v31, -v29, v30, v33
	v_fmac_f32_e32 v30, v31, v35
	v_rcp_f32_e32 v31, v8
	v_fma_f32 v29, -v29, v30, v33
	v_div_fmas_f32 v29, v29, v35, v30
	s_mov_b64 vcc, s[2:3]
	v_fma_f32 v30, -v8, v31, 1.0
	v_fmac_f32_e32 v31, v30, v31
	v_mul_f32_e32 v30, v32, v31
	v_fma_f32 v33, -v8, v30, v32
	v_fmac_f32_e32 v30, v33, v31
	v_fma_f32 v8, -v8, v30, v32
	v_div_fmas_f32 v8, v8, v31, v30
	v_add_f32_e32 v6, v12, v6
	v_div_fixup_f32 v12, v24, v18, v23
	v_add_f32_e32 v6, v6, v12
	v_add_f32_e32 v5, v13, v5
	v_div_fixup_f32 v12, v21, v15, v26
	v_add_f32_e32 v5, v5, v12
	v_div_fixup_f32 v12, v25, v18, v28
	v_add_f32_e32 v13, v12, v5
	s_waitcnt lgkmcnt(0)
	v_add_f32_e32 v4, v14, v4
	v_div_fixup_f32 v12, v17, v22, v27
	v_add_f32_e32 v4, v4, v12
	v_div_fixup_f32 v12, v29, v15, v16
	v_div_fixup_f32 v19, v20, v18, v19
	v_add_f32_e32 v4, v12, v4
	v_add_f32_e32 v11, v11, v19
	v_div_fixup_f32 v7, v8, v18, v7
	v_add_f32_e32 v14, v7, v4
	v_mov_b32_e32 v12, v6
	v_mov_b32_e32 v8, v18
.LBB31_75:
	s_or_b64 exec, exec, s[4:5]
	s_waitcnt lgkmcnt(0)
	v_lshlrev_b32_e32 v4, 2, v1
	v_or_b32_e32 v5, 0x80, v4
	ds_bpermute_b32 v15, v5, v8
	ds_bpermute_b32 v17, v5, v9
	;; [unrolled: 1-line block ×7, first 2 shown]
	v_add_u32_e32 v2, 32, v2
	v_cmp_lt_u32_e32 vcc, v2, v3
	s_and_saveexec_b64 s[4:5], vcc
	s_cbranch_execz .LBB31_77
; %bb.76:
	s_waitcnt lgkmcnt(3)
	v_sub_f32_e32 v3, v18, v11
	v_add_f32_e32 v2, v8, v15
	v_mul_f32_e32 v18, v3, v15
	v_div_scale_f32 v19, s[0:1], v2, v2, v18
	v_cmp_gt_f32_e64 s[0:1], v9, v17
	v_cndmask_b32_e64 v9, v9, v17, s[0:1]
	v_mul_f32_e32 v17, v3, v3
	v_div_scale_f32 v20, vcc, v18, v2, v18
	v_mul_f32_e32 v22, v8, v17
	v_cmp_lt_f32_e64 s[0:1], v10, v16
	v_mul_f32_e32 v22, v22, v15
	v_cndmask_b32_e64 v10, v10, v16, s[0:1]
	v_div_scale_f32 v24, s[0:1], v2, v2, v22
	v_div_scale_f32 v29, s[0:1], v22, v2, v22
	v_mul_f32_e32 v25, v3, v17
	v_rcp_f32_e32 v23, v19
	v_mul_f32_e32 v26, v3, v25
	v_mul_f32_e32 v25, v8, v25
	;; [unrolled: 1-line block ×3, first 2 shown]
	v_fma_f32 v27, -v19, v23, 1.0
	v_fmac_f32_e32 v23, v27, v23
	v_mul_f32_e32 v27, v20, v23
	v_fma_f32 v28, -v19, v27, v20
	v_fmac_f32_e32 v27, v28, v23
	v_sub_f32_e32 v30, v8, v15
	v_mul_f32_e32 v16, v2, v2
	v_rcp_f32_e32 v28, v24
	v_mul_f32_e32 v25, v30, v25
	v_fma_f32 v19, -v19, v27, v20
	v_div_scale_f32 v30, s[2:3], v16, v16, v25
	v_fma_f32 v20, -v24, v28, 1.0
	v_fmac_f32_e32 v28, v20, v28
	v_div_fmas_f32 v19, v19, v23, v27
	v_mul_f32_e32 v23, v29, v28
	v_fma_f32 v27, -v24, v23, v29
	v_fmac_f32_e32 v23, v27, v28
	v_fma_f32 v24, -v24, v23, v29
	s_mov_b64 vcc, s[0:1]
	v_div_fmas_f32 v23, v24, v28, v23
	v_mul_f32_e32 v28, v12, v15
	v_div_scale_f32 v20, s[2:3], v25, v16, v25
	v_mul_f32_e32 v27, 0x40400000, v3
	s_waitcnt lgkmcnt(2)
	v_fma_f32 v28, v8, v7, -v28
	v_mul_f32_e32 v27, v27, v28
	v_div_scale_f32 v28, s[0:1], v2, v2, v27
	v_div_scale_f32 v31, s[0:1], v27, v2, v27
	v_rcp_f32_e32 v24, v30
	v_mul_f32_e32 v32, v8, v8
	v_mul_f32_e32 v26, v8, v26
	v_fma_f32 v33, -v8, v15, v32
	v_fma_f32 v29, -v30, v24, 1.0
	v_fmac_f32_e32 v24, v29, v24
	v_mul_f32_e32 v26, v26, v15
	v_mul_f32_e32 v29, v20, v24
	v_fma_f32 v34, -v30, v29, v20
	v_fmac_f32_e32 v29, v34, v24
	v_fmac_f32_e32 v33, v15, v15
	v_mul_f32_e32 v21, v2, v16
	v_rcp_f32_e32 v34, v28
	v_mul_f32_e32 v26, v33, v26
	v_fma_f32 v20, -v30, v29, v20
	s_mov_b64 vcc, s[2:3]
	v_div_scale_f32 v33, s[10:11], v21, v21, v26
	v_div_fmas_f32 v20, v20, v24, v29
	v_fma_f32 v24, -v28, v34, 1.0
	v_fmac_f32_e32 v34, v24, v34
	v_mul_f32_e32 v24, v31, v34
	v_fma_f32 v29, -v28, v24, v31
	v_fmac_f32_e32 v24, v29, v34
	v_fma_f32 v28, -v28, v24, v31
	s_mov_b64 vcc, s[0:1]
	v_div_fmas_f32 v24, v28, v34, v24
	v_div_scale_f32 v30, vcc, v26, v21, v26
	v_mul_f32_e32 v28, v15, v15
	v_mul_f32_e32 v31, v32, v7
	;; [unrolled: 1-line block ×3, first 2 shown]
	v_fmac_f32_e32 v31, v12, v28
	v_mul_f32_e32 v17, v17, v31
	v_div_scale_f32 v28, s[0:1], v16, v16, v17
	v_mul_f32_e32 v15, v13, v15
	v_rcp_f32_e32 v29, v33
	v_div_scale_f32 v32, s[0:1], v17, v16, v17
	v_mul_f32_e32 v3, 4.0, v3
	s_waitcnt lgkmcnt(1)
	v_fma_f32 v8, v8, v6, -v15
	v_mul_f32_e32 v3, v3, v8
	v_div_scale_f32 v8, s[2:3], v2, v2, v3
	v_fma_f32 v31, -v33, v29, 1.0
	v_fmac_f32_e32 v29, v31, v29
	v_mul_f32_e32 v15, v30, v29
	v_fma_f32 v31, -v33, v15, v30
	v_fmac_f32_e32 v15, v31, v29
	v_div_scale_f32 v31, s[2:3], v3, v2, v3
	v_rcp_f32_e32 v34, v28
	v_fma_f32 v30, -v33, v15, v30
	v_div_fmas_f32 v15, v30, v29, v15
	s_mov_b64 vcc, s[0:1]
	v_fma_f32 v29, -v28, v34, 1.0
	v_fmac_f32_e32 v34, v29, v34
	v_mul_f32_e32 v29, v32, v34
	v_fma_f32 v30, -v28, v29, v32
	v_fmac_f32_e32 v29, v30, v34
	v_rcp_f32_e32 v30, v8
	v_fma_f32 v28, -v28, v29, v32
	v_div_fmas_f32 v28, v28, v34, v29
	s_mov_b64 vcc, s[2:3]
	v_fma_f32 v29, -v8, v30, 1.0
	v_fmac_f32_e32 v30, v29, v30
	v_mul_f32_e32 v29, v31, v30
	v_fma_f32 v32, -v8, v29, v31
	v_fmac_f32_e32 v29, v32, v30
	v_fma_f32 v8, -v8, v29, v31
	v_div_fmas_f32 v8, v8, v30, v29
	v_add_f32_e32 v7, v12, v7
	v_div_fixup_f32 v12, v23, v2, v22
	v_add_f32_e32 v7, v7, v12
	v_add_f32_e32 v6, v13, v6
	v_div_fixup_f32 v12, v20, v16, v25
	v_add_f32_e32 v6, v6, v12
	v_div_fixup_f32 v12, v24, v2, v27
	v_add_f32_e32 v13, v12, v6
	s_waitcnt lgkmcnt(0)
	v_add_f32_e32 v5, v14, v5
	v_div_fixup_f32 v12, v15, v21, v26
	v_add_f32_e32 v5, v5, v12
	v_div_fixup_f32 v12, v28, v16, v17
	v_div_fixup_f32 v18, v19, v2, v18
	v_add_f32_e32 v5, v12, v5
	v_add_f32_e32 v11, v11, v18
	v_div_fixup_f32 v3, v8, v2, v3
	v_add_f32_e32 v14, v3, v5
	v_mov_b32_e32 v12, v7
	v_mov_b32_e32 v8, v2
.LBB31_77:
	s_or_b64 exec, exec, s[4:5]
	v_cmp_eq_u32_e32 vcc, 0, v1
	s_and_saveexec_b64 s[0:1], vcc
	s_cbranch_execz .LBB31_79
; %bb.78:
	v_lshrrev_b32_e32 v2, 6, v0
	v_mul_u32_u24_e32 v2, 28, v2
	ds_write2_b32 v2, v8, v9 offset1:1
	ds_write2_b32 v2, v10, v11 offset0:2 offset1:3
	ds_write2_b32 v2, v12, v13 offset0:4 offset1:5
	ds_write_b32 v2, v14 offset:24
.LBB31_79:
	s_or_b64 exec, exec, s[0:1]
	v_cmp_gt_u32_e32 vcc, 4, v0
	s_waitcnt lgkmcnt(0)
	s_barrier
	s_and_saveexec_b64 s[4:5], vcc
	s_cbranch_execz .LBB31_85
; %bb.80:
	v_mul_u32_u24_e32 v2, 28, v1
	ds_read2_b32 v[8:9], v2 offset1:1
	ds_read2_b32 v[10:11], v2 offset0:2 offset1:3
	ds_read2_b32 v[12:13], v2 offset0:4 offset1:5
	ds_read_b32 v14, v2 offset:24
	v_and_b32_e32 v2, 3, v1
	v_cmp_ne_u32_e32 vcc, 3, v2
	v_addc_co_u32_e32 v1, vcc, 0, v1, vcc
	v_lshlrev_b32_e32 v1, 2, v1
	s_waitcnt lgkmcnt(3)
	ds_bpermute_b32 v7, v1, v8
	ds_bpermute_b32 v18, v1, v9
	s_waitcnt lgkmcnt(4)
	ds_bpermute_b32 v17, v1, v10
	ds_bpermute_b32 v19, v1, v11
	s_waitcnt lgkmcnt(5)
	ds_bpermute_b32 v6, v1, v12
	ds_bpermute_b32 v5, v1, v13
	s_waitcnt lgkmcnt(6)
	ds_bpermute_b32 v3, v1, v14
	s_add_i32 s8, s8, 63
	s_lshr_b32 s10, s8, 6
	v_add_u32_e32 v15, 1, v2
	v_cmp_gt_u32_e32 vcc, s10, v15
	v_mov_b32_e32 v16, v13
	v_mov_b32_e32 v15, v12
	;; [unrolled: 1-line block ×3, first 2 shown]
	s_and_saveexec_b64 s[8:9], vcc
	s_cbranch_execz .LBB31_82
; %bb.81:
	s_waitcnt lgkmcnt(3)
	v_sub_f32_e32 v15, v19, v11
	v_add_f32_e32 v1, v8, v7
	v_mul_f32_e32 v16, v15, v7
	v_div_scale_f32 v19, s[0:1], v1, v1, v16
	v_cmp_gt_f32_e64 s[0:1], v9, v18
	v_cndmask_b32_e64 v9, v9, v18, s[0:1]
	v_mul_f32_e32 v18, v15, v15
	v_div_scale_f32 v20, vcc, v16, v1, v16
	v_mul_f32_e32 v22, v8, v18
	v_cmp_lt_f32_e64 s[0:1], v10, v17
	v_mul_f32_e32 v22, v22, v7
	v_cndmask_b32_e64 v10, v10, v17, s[0:1]
	v_div_scale_f32 v24, s[0:1], v1, v1, v22
	v_div_scale_f32 v29, s[0:1], v22, v1, v22
	v_mul_f32_e32 v25, v15, v18
	v_rcp_f32_e32 v23, v19
	v_mul_f32_e32 v26, v15, v25
	v_mul_f32_e32 v25, v8, v25
	;; [unrolled: 1-line block ×3, first 2 shown]
	v_fma_f32 v27, -v19, v23, 1.0
	v_fmac_f32_e32 v23, v27, v23
	v_mul_f32_e32 v27, v20, v23
	v_fma_f32 v28, -v19, v27, v20
	v_fmac_f32_e32 v27, v28, v23
	v_sub_f32_e32 v30, v8, v7
	v_mul_f32_e32 v17, v1, v1
	v_rcp_f32_e32 v28, v24
	v_mul_f32_e32 v25, v30, v25
	v_fma_f32 v19, -v19, v27, v20
	v_div_scale_f32 v30, s[2:3], v17, v17, v25
	v_fma_f32 v20, -v24, v28, 1.0
	v_fmac_f32_e32 v28, v20, v28
	v_div_fmas_f32 v19, v19, v23, v27
	v_mul_f32_e32 v23, v29, v28
	v_fma_f32 v27, -v24, v23, v29
	v_fmac_f32_e32 v23, v27, v28
	v_fma_f32 v24, -v24, v23, v29
	s_mov_b64 vcc, s[0:1]
	v_div_fmas_f32 v23, v24, v28, v23
	v_mul_f32_e32 v28, v12, v7
	v_div_scale_f32 v20, s[2:3], v25, v17, v25
	v_mul_f32_e32 v27, 0x40400000, v15
	s_waitcnt lgkmcnt(2)
	v_fma_f32 v28, v8, v6, -v28
	v_mul_f32_e32 v27, v27, v28
	v_div_scale_f32 v28, s[0:1], v1, v1, v27
	v_div_scale_f32 v31, s[0:1], v27, v1, v27
	v_rcp_f32_e32 v24, v30
	v_mul_f32_e32 v32, v8, v8
	v_mul_f32_e32 v26, v8, v26
	v_fma_f32 v33, -v8, v7, v32
	v_fma_f32 v29, -v30, v24, 1.0
	v_fmac_f32_e32 v24, v29, v24
	v_mul_f32_e32 v26, v26, v7
	v_mul_f32_e32 v29, v20, v24
	v_fma_f32 v34, -v30, v29, v20
	v_fmac_f32_e32 v29, v34, v24
	v_fmac_f32_e32 v33, v7, v7
	v_mul_f32_e32 v21, v1, v17
	v_rcp_f32_e32 v34, v28
	v_mul_f32_e32 v26, v33, v26
	v_fma_f32 v20, -v30, v29, v20
	s_mov_b64 vcc, s[2:3]
	v_div_scale_f32 v33, s[12:13], v21, v21, v26
	v_div_fmas_f32 v20, v20, v24, v29
	v_fma_f32 v24, -v28, v34, 1.0
	v_fmac_f32_e32 v34, v24, v34
	v_mul_f32_e32 v24, v31, v34
	v_fma_f32 v29, -v28, v24, v31
	v_fmac_f32_e32 v24, v29, v34
	v_fma_f32 v28, -v28, v24, v31
	s_mov_b64 vcc, s[0:1]
	v_div_fmas_f32 v24, v28, v34, v24
	v_div_scale_f32 v30, vcc, v26, v21, v26
	v_mul_f32_e32 v28, v7, v7
	v_mul_f32_e32 v31, v32, v6
	;; [unrolled: 1-line block ×3, first 2 shown]
	v_fmac_f32_e32 v31, v12, v28
	v_mul_f32_e32 v18, v18, v31
	v_div_scale_f32 v28, s[0:1], v17, v17, v18
	v_mul_f32_e32 v7, v13, v7
	v_rcp_f32_e32 v29, v33
	v_div_scale_f32 v32, s[0:1], v18, v17, v18
	v_mul_f32_e32 v15, 4.0, v15
	s_waitcnt lgkmcnt(1)
	v_fma_f32 v7, v8, v5, -v7
	v_mul_f32_e32 v7, v15, v7
	v_div_scale_f32 v8, s[2:3], v1, v1, v7
	v_fma_f32 v31, -v33, v29, 1.0
	v_fmac_f32_e32 v29, v31, v29
	v_mul_f32_e32 v15, v30, v29
	v_fma_f32 v31, -v33, v15, v30
	v_fmac_f32_e32 v15, v31, v29
	v_div_scale_f32 v31, s[2:3], v7, v1, v7
	v_rcp_f32_e32 v34, v28
	v_fma_f32 v30, -v33, v15, v30
	v_div_fmas_f32 v29, v30, v29, v15
	s_mov_b64 vcc, s[0:1]
	v_fma_f32 v15, -v28, v34, 1.0
	v_fmac_f32_e32 v34, v15, v34
	v_mul_f32_e32 v15, v32, v34
	v_fma_f32 v30, -v28, v15, v32
	v_fmac_f32_e32 v15, v30, v34
	v_rcp_f32_e32 v30, v8
	v_fma_f32 v28, -v28, v15, v32
	v_div_fmas_f32 v28, v28, v34, v15
	s_mov_b64 vcc, s[2:3]
	v_fma_f32 v15, -v8, v30, 1.0
	v_fmac_f32_e32 v30, v15, v30
	v_mul_f32_e32 v15, v31, v30
	v_fma_f32 v32, -v8, v15, v31
	v_fmac_f32_e32 v15, v32, v30
	v_fma_f32 v8, -v8, v15, v31
	v_div_fmas_f32 v8, v8, v30, v15
	v_div_fixup_f32 v15, v19, v1, v16
	v_add_f32_e32 v6, v12, v6
	v_div_fixup_f32 v12, v23, v1, v22
	v_add_f32_e32 v11, v11, v15
	v_add_f32_e32 v15, v6, v12
	;; [unrolled: 1-line block ×3, first 2 shown]
	v_div_fixup_f32 v6, v20, v17, v25
	v_add_f32_e32 v5, v5, v6
	v_div_fixup_f32 v6, v24, v1, v27
	v_add_f32_e32 v16, v6, v5
	s_waitcnt lgkmcnt(0)
	v_add_f32_e32 v3, v14, v3
	v_div_fixup_f32 v5, v29, v21, v26
	v_add_f32_e32 v3, v3, v5
	v_div_fixup_f32 v5, v28, v17, v18
	;; [unrolled: 2-line block ×3, first 2 shown]
	v_add_f32_e32 v14, v5, v3
	v_mov_b32_e32 v13, v16
	v_mov_b32_e32 v12, v15
	;; [unrolled: 1-line block ×3, first 2 shown]
.LBB31_82:
	s_or_b64 exec, exec, s[8:9]
	s_waitcnt lgkmcnt(5)
	v_or_b32_e32 v18, 8, v4
	s_waitcnt lgkmcnt(1)
	ds_bpermute_b32 v5, v18, v1
	ds_bpermute_b32 v7, v18, v9
	;; [unrolled: 1-line block ×5, first 2 shown]
	s_waitcnt lgkmcnt(5)
	ds_bpermute_b32 v3, v18, v16
	ds_bpermute_b32 v1, v18, v14
	v_add_u32_e32 v2, 2, v2
	v_cmp_gt_u32_e32 vcc, s10, v2
	s_and_saveexec_b64 s[8:9], vcc
	s_cbranch_execz .LBB31_84
; %bb.83:
	s_waitcnt lgkmcnt(3)
	v_sub_f32_e32 v15, v17, v11
	v_add_f32_e32 v2, v8, v5
	v_mul_f32_e32 v16, v15, v5
	v_div_scale_f32 v17, s[0:1], v2, v2, v16
	v_cmp_gt_f32_e64 s[0:1], v9, v7
	v_cndmask_b32_e64 v9, v9, v7, s[0:1]
	v_mul_f32_e32 v7, v15, v15
	v_div_scale_f32 v18, vcc, v16, v2, v16
	v_mul_f32_e32 v20, v8, v7
	v_cmp_lt_f32_e64 s[0:1], v10, v6
	v_mul_f32_e32 v20, v20, v5
	v_cndmask_b32_e64 v10, v10, v6, s[0:1]
	v_div_scale_f32 v22, s[0:1], v2, v2, v20
	v_div_scale_f32 v27, s[0:1], v20, v2, v20
	v_mul_f32_e32 v23, v15, v7
	v_rcp_f32_e32 v21, v17
	v_mul_f32_e32 v24, v15, v23
	v_mul_f32_e32 v23, v8, v23
	;; [unrolled: 1-line block ×3, first 2 shown]
	v_fma_f32 v25, -v17, v21, 1.0
	v_fmac_f32_e32 v21, v25, v21
	v_mul_f32_e32 v25, v18, v21
	v_fma_f32 v26, -v17, v25, v18
	v_fmac_f32_e32 v25, v26, v21
	v_sub_f32_e32 v28, v8, v5
	v_mul_f32_e32 v6, v2, v2
	v_rcp_f32_e32 v26, v22
	v_mul_f32_e32 v23, v28, v23
	v_fma_f32 v17, -v17, v25, v18
	v_div_scale_f32 v28, s[2:3], v6, v6, v23
	v_fma_f32 v18, -v22, v26, 1.0
	v_fmac_f32_e32 v26, v18, v26
	v_div_fmas_f32 v17, v17, v21, v25
	v_mul_f32_e32 v21, v27, v26
	v_fma_f32 v25, -v22, v21, v27
	v_fmac_f32_e32 v21, v25, v26
	v_fma_f32 v22, -v22, v21, v27
	s_mov_b64 vcc, s[0:1]
	v_div_fmas_f32 v21, v22, v26, v21
	v_mul_f32_e32 v26, v12, v5
	v_div_scale_f32 v18, s[2:3], v23, v6, v23
	v_mul_f32_e32 v25, 0x40400000, v15
	s_waitcnt lgkmcnt(2)
	v_fma_f32 v26, v8, v4, -v26
	v_mul_f32_e32 v25, v25, v26
	v_div_scale_f32 v26, s[0:1], v2, v2, v25
	v_div_scale_f32 v29, s[0:1], v25, v2, v25
	v_rcp_f32_e32 v22, v28
	v_mul_f32_e32 v30, v8, v8
	v_mul_f32_e32 v24, v8, v24
	v_fma_f32 v31, -v8, v5, v30
	v_fma_f32 v27, -v28, v22, 1.0
	v_fmac_f32_e32 v22, v27, v22
	v_mul_f32_e32 v24, v24, v5
	v_mul_f32_e32 v27, v18, v22
	v_fma_f32 v32, -v28, v27, v18
	v_fmac_f32_e32 v27, v32, v22
	v_fmac_f32_e32 v31, v5, v5
	v_mul_f32_e32 v19, v2, v6
	v_rcp_f32_e32 v32, v26
	v_mul_f32_e32 v24, v31, v24
	v_fma_f32 v18, -v28, v27, v18
	s_mov_b64 vcc, s[2:3]
	v_div_scale_f32 v31, s[10:11], v19, v19, v24
	v_div_fmas_f32 v18, v18, v22, v27
	v_fma_f32 v22, -v26, v32, 1.0
	v_fmac_f32_e32 v32, v22, v32
	v_mul_f32_e32 v22, v29, v32
	v_fma_f32 v27, -v26, v22, v29
	v_fmac_f32_e32 v22, v27, v32
	v_fma_f32 v26, -v26, v22, v29
	s_mov_b64 vcc, s[0:1]
	v_div_fmas_f32 v22, v26, v32, v22
	v_div_scale_f32 v28, vcc, v24, v19, v24
	v_mul_f32_e32 v26, v5, v5
	v_mul_f32_e32 v29, v30, v4
	;; [unrolled: 1-line block ×3, first 2 shown]
	v_fmac_f32_e32 v29, v12, v26
	v_mul_f32_e32 v7, v7, v29
	v_div_scale_f32 v26, s[0:1], v6, v6, v7
	v_mul_f32_e32 v5, v13, v5
	v_rcp_f32_e32 v27, v31
	v_div_scale_f32 v30, s[0:1], v7, v6, v7
	v_mul_f32_e32 v15, 4.0, v15
	s_waitcnt lgkmcnt(1)
	v_fma_f32 v5, v8, v3, -v5
	v_mul_f32_e32 v5, v15, v5
	v_div_scale_f32 v8, s[2:3], v2, v2, v5
	v_fma_f32 v29, -v31, v27, 1.0
	v_fmac_f32_e32 v27, v29, v27
	v_mul_f32_e32 v15, v28, v27
	v_fma_f32 v29, -v31, v15, v28
	v_fmac_f32_e32 v15, v29, v27
	v_div_scale_f32 v29, s[2:3], v5, v2, v5
	v_rcp_f32_e32 v32, v26
	v_fma_f32 v28, -v31, v15, v28
	v_div_fmas_f32 v15, v28, v27, v15
	s_mov_b64 vcc, s[0:1]
	v_fma_f32 v27, -v26, v32, 1.0
	v_fmac_f32_e32 v32, v27, v32
	v_mul_f32_e32 v27, v30, v32
	v_fma_f32 v28, -v26, v27, v30
	v_fmac_f32_e32 v27, v28, v32
	v_rcp_f32_e32 v28, v8
	v_fma_f32 v26, -v26, v27, v30
	v_div_fmas_f32 v26, v26, v32, v27
	s_mov_b64 vcc, s[2:3]
	v_fma_f32 v27, -v8, v28, 1.0
	v_fmac_f32_e32 v28, v27, v28
	v_mul_f32_e32 v27, v29, v28
	v_fma_f32 v30, -v8, v27, v29
	v_fmac_f32_e32 v27, v30, v28
	v_fma_f32 v8, -v8, v27, v29
	v_div_fmas_f32 v8, v8, v28, v27
	v_add_f32_e32 v4, v12, v4
	v_div_fixup_f32 v12, v21, v2, v20
	v_add_f32_e32 v4, v4, v12
	v_add_f32_e32 v3, v13, v3
	v_div_fixup_f32 v12, v18, v6, v23
	v_add_f32_e32 v3, v3, v12
	v_div_fixup_f32 v12, v22, v2, v25
	v_add_f32_e32 v13, v12, v3
	s_waitcnt lgkmcnt(0)
	v_add_f32_e32 v1, v14, v1
	v_div_fixup_f32 v12, v15, v19, v24
	v_add_f32_e32 v1, v1, v12
	v_div_fixup_f32 v6, v26, v6, v7
	v_div_fixup_f32 v16, v17, v2, v16
	v_add_f32_e32 v1, v6, v1
	v_add_f32_e32 v11, v11, v16
	v_div_fixup_f32 v5, v8, v2, v5
	v_add_f32_e32 v14, v5, v1
	v_mov_b32_e32 v8, v2
	v_mov_b32_e32 v12, v4
.LBB31_84:
	s_or_b64 exec, exec, s[8:9]
.LBB31_85:
	s_or_b64 exec, exec, s[4:5]
.LBB31_86:
	v_cmp_eq_u32_e32 vcc, 0, v0
                                        ; implicit-def: $vgpr7
                                        ; implicit-def: $vgpr4
	s_and_saveexec_b64 s[0:1], vcc
	s_xor_b64 s[4:5], exec, s[0:1]
	s_cbranch_execz .LBB31_90
; %bb.87:
	s_cmp_eq_u64 s[16:17], 0
	s_waitcnt lgkmcnt(5)
	v_mov_b32_e32 v7, s26
	s_waitcnt lgkmcnt(4)
	v_mov_b32_e32 v6, s25
	v_mov_b32_e32 v5, s24
	s_waitcnt lgkmcnt(2)
	v_mov_b32_e32 v4, s23
	s_waitcnt lgkmcnt(1)
	v_mov_b32_e32 v3, s22
	v_mov_b32_e32 v2, s21
	s_waitcnt lgkmcnt(0)
	v_mov_b32_e32 v1, s20
	s_cbranch_scc1 .LBB31_89
; %bb.88:
	v_subrev_f32_e32 v4, s23, v11
	v_add_f32_e32 v1, s20, v8
	v_mul_f32_e32 v5, v4, v8
	v_div_scale_f32 v6, s[0:1], v1, v1, v5
	v_mul_f32_e32 v15, v4, v4
	v_div_scale_f32 v11, vcc, v5, v1, v5
	v_mul_f32_e32 v17, s20, v15
	v_mov_b32_e32 v2, s21
	v_cmp_gt_f32_e64 s[0:1], s21, v9
	v_mul_f32_e32 v17, v8, v17
	v_cndmask_b32_e64 v2, v2, v9, s[0:1]
	v_div_scale_f32 v20, s[0:1], v1, v1, v17
	v_mov_b32_e32 v3, s22
	v_cmp_lt_f32_e64 s[0:1], s22, v10
	v_cndmask_b32_e64 v3, v3, v10, s[0:1]
	v_div_scale_f32 v22, s[0:1], v17, v1, v17
	v_rcp_f32_e32 v19, v6
	v_mul_f32_e32 v16, v4, v15
	v_mul_f32_e32 v18, v4, v16
	;; [unrolled: 1-line block ×3, first 2 shown]
	v_fma_f32 v10, -v6, v19, 1.0
	v_fmac_f32_e32 v19, v10, v19
	v_mul_f32_e32 v10, v11, v19
	v_fma_f32 v21, -v6, v10, v11
	v_fmac_f32_e32 v10, v21, v19
	v_rcp_f32_e32 v21, v20
	v_mul_f32_e32 v16, v8, v16
	v_sub_f32_e32 v23, s20, v8
	v_fma_f32 v6, -v6, v10, v11
	v_mul_f32_e32 v7, v1, v1
	v_mul_f32_e32 v16, v23, v16
	v_div_fmas_f32 v6, v6, v19, v10
	v_fma_f32 v10, -v20, v21, 1.0
	v_div_scale_f32 v23, s[2:3], v7, v7, v16
	v_fmac_f32_e32 v21, v10, v21
	v_mul_f32_e32 v11, v22, v21
	v_fma_f32 v19, -v20, v11, v22
	v_fmac_f32_e32 v11, v19, v21
	v_fma_f32 v19, -v20, v11, v22
	s_mov_b64 vcc, s[0:1]
	v_div_fmas_f32 v11, v19, v21, v11
	v_mul_f32_e32 v21, s24, v8
	v_div_scale_f32 v10, s[2:3], v16, v7, v16
	v_mul_f32_e32 v20, 0x40400000, v4
	v_fma_f32 v21, s20, v12, -v21
	v_mul_f32_e32 v20, v20, v21
	v_div_scale_f32 v21, s[0:1], v1, v1, v20
	v_div_scale_f32 v24, s[0:1], v20, v1, v20
	v_rcp_f32_e32 v19, v23
	v_mul_f32_e64 v25, s20, s20
	v_mul_f32_e32 v18, s20, v18
	v_fma_f32 v26, -s20, v8, v25
	v_fma_f32 v22, -v23, v19, 1.0
	v_fmac_f32_e32 v19, v22, v19
	v_mul_f32_e32 v18, v8, v18
	v_mul_f32_e32 v22, v10, v19
	v_fma_f32 v27, -v23, v22, v10
	v_fmac_f32_e32 v22, v27, v19
	v_fmac_f32_e32 v26, v8, v8
	v_mul_f32_e32 v9, v1, v7
	v_rcp_f32_e32 v27, v21
	v_mul_f32_e32 v18, v26, v18
	v_fma_f32 v10, -v23, v22, v10
	s_mov_b64 vcc, s[2:3]
	v_div_scale_f32 v26, s[8:9], v9, v9, v18
	v_div_fmas_f32 v10, v10, v19, v22
	v_fma_f32 v19, -v21, v27, 1.0
	v_fmac_f32_e32 v27, v19, v27
	v_mul_f32_e32 v19, v24, v27
	v_fma_f32 v22, -v21, v19, v24
	v_fmac_f32_e32 v19, v22, v27
	v_fma_f32 v21, -v21, v19, v24
	s_mov_b64 vcc, s[0:1]
	v_div_fmas_f32 v19, v21, v27, v19
	v_mul_f32_e32 v21, v8, v8
	v_div_scale_f32 v23, vcc, v18, v9, v18
	v_mul_f32_e32 v21, s24, v21
	v_mul_f32_e32 v15, 0x40c00000, v15
	v_fmac_f32_e32 v21, v25, v12
	v_mul_f32_e32 v15, v15, v21
	v_div_scale_f32 v21, s[0:1], v7, v7, v15
	v_mul_f32_e32 v8, s25, v8
	v_rcp_f32_e32 v22, v26
	v_div_scale_f32 v25, s[0:1], v15, v7, v15
	v_mul_f32_e32 v4, 4.0, v4
	v_fma_f32 v8, s20, v13, -v8
	v_mul_f32_e32 v8, v4, v8
	v_div_scale_f32 v4, s[2:3], v1, v1, v8
	v_fma_f32 v24, -v26, v22, 1.0
	v_fmac_f32_e32 v22, v24, v22
	v_mul_f32_e32 v24, v23, v22
	v_fma_f32 v27, -v26, v24, v23
	v_fmac_f32_e32 v24, v27, v22
	v_div_scale_f32 v27, s[2:3], v8, v1, v8
	v_rcp_f32_e32 v28, v21
	v_fma_f32 v23, -v26, v24, v23
	v_div_fmas_f32 v22, v23, v22, v24
	s_mov_b64 vcc, s[0:1]
	v_fma_f32 v23, -v21, v28, 1.0
	v_fmac_f32_e32 v28, v23, v28
	v_mul_f32_e32 v23, v25, v28
	v_fma_f32 v24, -v21, v23, v25
	v_fmac_f32_e32 v23, v24, v28
	v_rcp_f32_e32 v24, v4
	v_fma_f32 v21, -v21, v23, v25
	v_div_fmas_f32 v21, v21, v28, v23
	s_mov_b64 vcc, s[2:3]
	v_fma_f32 v23, -v4, v24, 1.0
	v_fmac_f32_e32 v24, v23, v24
	v_mul_f32_e32 v23, v27, v24
	v_fma_f32 v25, -v4, v23, v27
	v_fmac_f32_e32 v23, v25, v24
	v_fma_f32 v4, -v4, v23, v27
	v_div_fmas_f32 v23, v4, v24, v23
	v_div_fixup_f32 v4, v6, v1, v5
	v_add_f32_e32 v5, s24, v12
	v_div_fixup_f32 v6, v11, v1, v17
	v_add_f32_e32 v5, v5, v6
	v_add_f32_e32 v6, s25, v13
	v_div_fixup_f32 v10, v10, v7, v16
	v_add_f32_e32 v6, v6, v10
	v_div_fixup_f32 v10, v19, v1, v20
	v_add_f32_e32 v6, v10, v6
	v_add_f32_e32 v10, s26, v14
	;; [unrolled: 5-line block ×3, first 2 shown]
	v_div_fixup_f32 v8, v23, v1, v8
	v_add_f32_e32 v7, v8, v7
.LBB31_89:
	s_or_b64 s[28:29], s[28:29], exec
.LBB31_90:
	s_or_b64 exec, exec, s[4:5]
	s_branch .LBB31_99
.LBB31_91:
	s_cmp_eq_u32 s33, 1
	s_cbranch_scc0 .LBB31_98
; %bb.92:
	s_mov_b32 s31, 0
	s_lshl_b32 s30, s6, 8
	s_mov_b32 s7, s31
	s_lshr_b64 s[0:1], s[16:17], 8
	s_cmp_lg_u64 s[0:1], s[6:7]
	s_waitcnt lgkmcnt(0)
	v_mbcnt_lo_u32_b32 v1, -1, 0
	s_cbranch_scc0 .LBB31_101
; %bb.93:
	s_lshl_b64 s[0:1], s[30:31], 2
	s_add_u32 s0, s14, s0
	s_addc_u32 s1, s15, s1
	v_lshlrev_b32_e32 v2, 2, v0
	global_load_dword v3, v2, s[0:1]
	v_mov_b32_e32 v4, 0
	v_mov_b32_e32 v5, 1.0
	v_mbcnt_hi_u32_b32 v2, -1, v1
	v_mov_b32_dpp v4, v4 quad_perm:[1,0,3,2] row_mask:0xf bank_mask:0xf bound_ctrl:1
	v_mov_b32_dpp v5, v5 quad_perm:[1,0,3,2] row_mask:0xf bank_mask:0xf bound_ctrl:1
	v_add_f32_e32 v6, 1.0, v5
	v_fma_f32 v9, v5, 0, -v4
	v_mul_f32_e32 v10, v5, v5
	v_add_f32_e32 v7, 0, v4
	v_fmac_f32_e32 v4, 0, v10
	v_add_f32_e32 v8, -1.0, v5
	v_fma_f32 v11, v5, v5, -v5
	v_mul_f32_e32 v12, v6, v6
	v_add_f32_e32 v11, 1.0, v11
	v_mul_f32_e32 v10, v6, v12
	s_waitcnt vmcnt(0)
	v_mov_b32_dpp v13, v3 quad_perm:[1,0,3,2] row_mask:0xf bank_mask:0xf bound_ctrl:1
	v_sub_f32_e32 v14, v3, v13
	v_mul_f32_e32 v16, v14, v14
	v_mul_f32_e32 v19, 0x40400000, v14
	;; [unrolled: 1-line block ×3, first 2 shown]
	v_div_scale_f32 v17, s[0:1], v6, v6, v14
	v_mul_f32_e32 v20, 4.0, v14
	v_mul_f32_e32 v19, v19, v9
	v_div_scale_f32 v23, s[0:1], v6, v6, v22
	v_mul_f32_e32 v21, v14, v16
	v_mul_f32_e32 v16, 0x40c00000, v16
	;; [unrolled: 1-line block ×3, first 2 shown]
	v_div_scale_f32 v25, s[2:3], v6, v6, v19
	v_mul_f32_e32 v4, v4, v16
	v_div_scale_f32 v16, s[4:5], v6, v6, v9
	v_cmp_lt_f32_e32 vcc, v3, v13
	v_cndmask_b32_e32 v15, v13, v3, vcc
	v_cmp_gt_f32_e32 vcc, v3, v13
	v_cndmask_b32_e32 v3, v13, v3, vcc
	v_div_scale_f32 v18, vcc, v14, v6, v14
	v_mul_f32_e32 v20, v14, v21
	v_div_scale_f32 v24, s[0:1], v22, v6, v22
	v_mul_f32_e32 v21, v21, v5
	v_mul_f32_e32 v8, v8, v21
	;; [unrolled: 1-line block ×3, first 2 shown]
	v_div_scale_f32 v28, s[10:11], v12, v12, v8
	v_mul_f32_e32 v5, v11, v5
	v_rcp_f32_e32 v30, v17
	v_rcp_f32_e32 v31, v23
	v_div_scale_f32 v11, s[12:13], v10, v10, v5
	v_rcp_f32_e32 v32, v25
	v_rcp_f32_e32 v33, v16
	v_div_scale_f32 v26, s[2:3], v19, v6, v19
	v_fma_f32 v34, -v17, v30, 1.0
	v_fma_f32 v35, -v23, v31, 1.0
	v_fmac_f32_e32 v30, v34, v30
	v_fmac_f32_e32 v31, v35, v31
	v_fma_f32 v35, -v25, v32, 1.0
	v_div_scale_f32 v29, s[10:11], v8, v12, v8
	v_mul_f32_e32 v34, v18, v30
	v_fmac_f32_e32 v32, v35, v32
	v_fma_f32 v35, -v16, v33, 1.0
	v_fmac_f32_e32 v33, v35, v33
	v_fma_f32 v35, -v17, v34, v18
	v_fmac_f32_e32 v34, v35, v30
	v_div_scale_f32 v35, s[12:13], v5, v10, v5
	v_fma_f32 v17, -v17, v34, v18
	v_div_fmas_f32 v17, v17, v30, v34
	v_mul_f32_e32 v30, v24, v31
	v_div_scale_f32 v20, s[8:9], v12, v12, v4
	v_fma_f32 v34, -v23, v30, v24
	v_fmac_f32_e32 v30, v34, v31
	v_rcp_f32_e32 v34, v28
	v_fma_f32 v23, -v23, v30, v24
	v_rcp_f32_e32 v24, v11
	s_mov_b64 vcc, s[0:1]
	v_div_fmas_f32 v23, v23, v31, v30
	v_fma_f32 v30, -v28, v34, 1.0
	v_mul_f32_e32 v31, v26, v32
	v_div_scale_f32 v21, s[8:9], v4, v12, v4
	v_fmac_f32_e32 v34, v30, v34
	v_fma_f32 v30, -v25, v31, v26
	v_fmac_f32_e32 v31, v30, v32
	v_fma_f32 v30, -v11, v24, 1.0
	v_fmac_f32_e32 v24, v30, v24
	v_mul_f32_e32 v30, v29, v34
	v_fma_f32 v25, -v25, v31, v26
	v_fma_f32 v26, -v28, v30, v29
	v_fmac_f32_e32 v30, v26, v34
	v_mul_f32_e32 v26, v35, v24
	v_fma_f32 v28, -v28, v30, v29
	v_fma_f32 v29, -v11, v26, v35
	s_mov_b64 vcc, s[10:11]
	v_fmac_f32_e32 v26, v29, v24
	v_div_fmas_f32 v28, v28, v34, v30
	s_mov_b64 vcc, s[2:3]
	v_fma_f32 v11, -v11, v26, v35
	v_div_fmas_f32 v25, v25, v32, v31
	s_mov_b64 vcc, s[12:13]
	v_div_scale_f32 v27, s[4:5], v9, v6, v9
	v_div_fmas_f32 v11, v11, v24, v26
	v_rcp_f32_e32 v18, v20
	s_mov_b64 vcc, s[8:9]
	v_div_fixup_f32 v14, v17, v6, v14
	v_add_f32_e32 v13, v14, v13
	v_fma_f32 v29, -v20, v18, 1.0
	v_fmac_f32_e32 v18, v29, v18
	v_mul_f32_e32 v24, v21, v18
	v_fma_f32 v26, -v20, v24, v21
	v_fmac_f32_e32 v24, v26, v18
	v_fma_f32 v20, -v20, v24, v21
	v_div_fmas_f32 v18, v20, v18, v24
	v_div_fixup_f32 v8, v28, v12, v8
	s_mov_b64 vcc, s[4:5]
	v_add_f32_e32 v8, v7, v8
	v_div_fixup_f32 v17, v25, v6, v19
	v_div_fixup_f32 v5, v11, v10, v5
	v_mul_f32_e32 v10, v27, v33
	v_fma_f32 v11, -v16, v10, v27
	v_fmac_f32_e32 v10, v11, v33
	v_fma_f32 v11, -v16, v10, v27
	v_mov_b32_dpp v16, v13 quad_perm:[2,3,0,1] row_mask:0xf bank_mask:0xf bound_ctrl:1
	v_div_fmas_f32 v10, v11, v33, v10
	v_mov_b32_dpp v11, v6 quad_perm:[2,3,0,1] row_mask:0xf bank_mask:0xf bound_ctrl:1
	v_sub_f32_e32 v13, v13, v16
	v_add_f32_e32 v8, v17, v8
	v_add_f32_e32 v17, v6, v11
	v_mul_f32_e32 v19, v6, v13
	v_div_scale_f32 v20, s[0:1], v17, v17, v19
	v_div_fixup_f32 v14, v23, v6, v22
	v_add_f32_e32 v14, v7, v14
	v_add_f32_e32 v5, v7, v5
	v_mul_f32_e32 v7, v13, v13
	v_div_fixup_f32 v4, v18, v12, v4
	v_div_scale_f32 v18, vcc, v19, v17, v19
	v_mul_f32_e32 v21, v7, v11
	v_mul_f32_e32 v21, v6, v21
	v_div_scale_f32 v22, s[0:1], v17, v17, v21
	v_add_f32_e32 v4, v4, v5
	v_div_fixup_f32 v5, v10, v6, v9
	v_div_scale_f32 v9, s[0:1], v21, v17, v21
	v_rcp_f32_e32 v10, v20
	v_mul_f32_e32 v25, v13, v7
	v_mul_f32_e32 v24, v17, v17
	v_add_f32_e32 v4, v5, v4
	v_fma_f32 v26, -v20, v10, 1.0
	v_fmac_f32_e32 v10, v26, v10
	v_mul_f32_e32 v26, v18, v10
	v_fma_f32 v27, -v20, v26, v18
	v_fmac_f32_e32 v26, v27, v10
	v_fma_f32 v18, -v20, v26, v18
	v_rcp_f32_e32 v27, v22
	v_div_fmas_f32 v10, v18, v10, v26
	s_mov_b64 vcc, s[0:1]
	v_mov_b32_dpp v5, v15 quad_perm:[2,3,0,1] row_mask:0xf bank_mask:0xf bound_ctrl:1
	v_fma_f32 v18, -v22, v27, 1.0
	v_fmac_f32_e32 v27, v18, v27
	v_mul_f32_e32 v18, v9, v27
	v_fma_f32 v20, -v22, v18, v9
	v_fmac_f32_e32 v18, v20, v27
	v_fma_f32 v9, -v22, v18, v9
	v_div_fmas_f32 v9, v9, v27, v18
	v_mul_f32_e32 v18, v25, v11
	v_mul_f32_e32 v18, v6, v18
	v_sub_f32_e32 v20, v11, v6
	v_mul_f32_e32 v18, v20, v18
	v_div_scale_f32 v20, s[0:1], v24, v24, v18
	v_mov_b32_dpp v23, v3 quad_perm:[2,3,0,1] row_mask:0xf bank_mask:0xf bound_ctrl:1
	v_cmp_lt_f32_e32 vcc, v15, v5
	v_mov_b32_dpp v22, v14 quad_perm:[2,3,0,1] row_mask:0xf bank_mask:0xf bound_ctrl:1
	v_cndmask_b32_e32 v5, v5, v15, vcc
	v_cmp_gt_f32_e32 vcc, v3, v23
	v_cndmask_b32_e32 v3, v23, v3, vcc
	v_mul_f32_e32 v23, v6, v22
	v_div_fixup_f32 v10, v10, v17, v19
	v_div_scale_f32 v19, vcc, v18, v24, v18
	v_div_fixup_f32 v9, v9, v17, v21
	v_mul_f32_e32 v21, 0x40400000, v13
	v_fma_f32 v23, v14, v11, -v23
	v_mul_f32_e32 v21, v21, v23
	v_div_scale_f32 v23, s[0:1], v17, v17, v21
	v_div_scale_f32 v29, s[0:1], v21, v17, v21
	v_mul_f32_e32 v25, v13, v25
	v_add_f32_e32 v10, v10, v16
	v_rcp_f32_e32 v16, v20
	v_mul_f32_e32 v30, v11, v11
	v_mul_f32_e32 v25, v25, v11
	v_fma_f32 v31, -v6, v11, v30
	v_mul_f32_e32 v25, v6, v25
	v_fmac_f32_e32 v31, v6, v6
	v_mul_f32_e32 v28, v17, v24
	v_mul_f32_e32 v25, v31, v25
	v_div_scale_f32 v31, s[2:3], v28, v28, v25
	v_fma_f32 v32, -v20, v16, 1.0
	v_fmac_f32_e32 v16, v32, v16
	v_mul_f32_e32 v32, v19, v16
	v_fma_f32 v33, -v20, v32, v19
	v_fmac_f32_e32 v32, v33, v16
	v_rcp_f32_e32 v33, v23
	v_fma_f32 v19, -v20, v32, v19
	v_div_fmas_f32 v16, v19, v16, v32
	v_mul_f32_e32 v12, v12, v22
	v_fma_f32 v19, -v23, v33, 1.0
	v_fmac_f32_e32 v33, v19, v33
	v_mul_f32_e32 v19, v29, v33
	v_fma_f32 v20, -v23, v19, v29
	v_fmac_f32_e32 v19, v20, v33
	v_fma_f32 v20, -v23, v19, v29
	v_div_scale_f32 v29, s[2:3], v25, v28, v25
	v_mul_f32_e32 v7, 0x40c00000, v7
	v_fmac_f32_e32 v12, v30, v14
	v_mul_f32_e32 v7, v7, v12
	v_div_scale_f32 v12, s[4:5], v24, v24, v7
	v_rcp_f32_e32 v23, v31
	s_mov_b64 vcc, s[0:1]
	v_add_f32_e32 v15, v14, v22
	v_div_fmas_f32 v14, v20, v33, v19
	v_fma_f32 v19, -v31, v23, 1.0
	v_fmac_f32_e32 v23, v19, v23
	v_div_scale_f32 v19, s[0:1], v7, v24, v7
	v_mov_b32_dpp v26, v8 quad_perm:[2,3,0,1] row_mask:0xf bank_mask:0xf bound_ctrl:1
	v_mul_f32_e32 v6, v6, v26
	v_mul_f32_e32 v13, 4.0, v13
	v_fma_f32 v6, v8, v11, -v6
	v_mul_f32_e32 v11, v29, v23
	v_mul_f32_e32 v6, v13, v6
	v_fma_f32 v13, -v31, v11, v29
	v_fmac_f32_e32 v11, v13, v23
	v_rcp_f32_e32 v13, v12
	v_add_f32_e32 v9, v15, v9
	v_add_f32_e32 v15, v8, v26
	v_div_scale_f32 v8, s[4:5], v17, v17, v6
	v_fma_f32 v22, -v31, v11, v29
	s_mov_b64 vcc, s[2:3]
	v_div_fmas_f32 v11, v22, v23, v11
	v_fma_f32 v22, -v12, v13, 1.0
	v_fmac_f32_e32 v13, v22, v13
	v_mul_f32_e32 v22, v19, v13
	v_fma_f32 v23, -v12, v22, v19
	v_fmac_f32_e32 v22, v23, v13
	v_div_scale_f32 v20, s[4:5], v6, v17, v6
	v_fma_f32 v12, -v12, v22, v19
	s_mov_b64 vcc, s[0:1]
	v_div_fmas_f32 v12, v12, v13, v22
	v_div_fixup_f32 v13, v16, v24, v18
	v_rcp_f32_e32 v19, v8
	v_mov_b32_dpp v27, v4 quad_perm:[2,3,0,1] row_mask:0xf bank_mask:0xf bound_ctrl:1
	v_add_f32_e32 v4, v4, v27
	v_add_f32_e32 v13, v15, v13
	v_fma_f32 v16, -v8, v19, 1.0
	v_fmac_f32_e32 v19, v16, v19
	v_div_fixup_f32 v11, v11, v28, v25
	v_div_fixup_f32 v14, v14, v17, v21
	v_add_f32_e32 v4, v4, v11
	v_mov_b32_dpp v11, v17 row_ror:4 row_mask:0xf bank_mask:0xf bound_ctrl:1
	v_mul_f32_e32 v16, v20, v19
	v_fma_f32 v18, -v8, v16, v20
	v_fmac_f32_e32 v16, v18, v19
	v_fma_f32 v8, -v8, v16, v20
	v_div_fixup_f32 v7, v12, v24, v7
	v_mov_b32_dpp v12, v10 row_ror:4 row_mask:0xf bank_mask:0xf bound_ctrl:1
	v_sub_f32_e32 v10, v10, v12
	s_mov_b64 vcc, s[4:5]
	v_add_f32_e32 v13, v14, v13
	v_add_f32_e32 v14, v17, v11
	v_mul_f32_e32 v15, v17, v10
	v_div_fmas_f32 v8, v8, v19, v16
	v_div_scale_f32 v16, s[0:1], v14, v14, v15
	v_add_f32_e32 v4, v7, v4
	v_div_scale_f32 v7, vcc, v15, v14, v15
	v_mul_f32_e32 v18, v10, v10
	v_mul_f32_e32 v19, v18, v11
	;; [unrolled: 1-line block ×3, first 2 shown]
	v_div_scale_f32 v20, s[0:1], v14, v14, v19
	v_mul_f32_e32 v27, v10, v18
	v_mul_f32_e32 v28, v10, v27
	;; [unrolled: 1-line block ×5, first 2 shown]
	v_mov_b32_dpp v21, v9 row_ror:4 row_mask:0xf bank_mask:0xf bound_ctrl:1
	v_rcp_f32_e32 v25, v16
	v_mul_f32_e32 v33, v17, v21
	v_mul_f32_e32 v32, 0x40400000, v10
	v_fma_f32 v33, v9, v11, -v33
	v_fma_f32 v29, -v16, v25, 1.0
	v_fmac_f32_e32 v25, v29, v25
	v_mul_f32_e32 v29, v7, v25
	v_fma_f32 v30, -v16, v29, v7
	v_fmac_f32_e32 v29, v30, v25
	v_fma_f32 v7, -v16, v29, v7
	v_div_fmas_f32 v7, v7, v25, v29
	v_div_scale_f32 v25, vcc, v19, v14, v19
	v_sub_f32_e32 v29, v11, v17
	v_mul_f32_e32 v27, v29, v27
	v_div_scale_f32 v29, s[0:1], v23, v23, v27
	v_rcp_f32_e32 v16, v20
	v_div_scale_f32 v31, s[0:1], v27, v23, v27
	v_mul_f32_e32 v32, v32, v33
	v_div_scale_f32 v33, s[2:3], v14, v14, v32
	v_fma_f32 v30, -v20, v16, 1.0
	v_fmac_f32_e32 v16, v30, v16
	v_mul_f32_e32 v28, v28, v11
	v_mul_f32_e32 v28, v17, v28
	;; [unrolled: 1-line block ×3, first 2 shown]
	v_fma_f32 v34, -v20, v30, v25
	v_fmac_f32_e32 v30, v34, v16
	v_div_scale_f32 v34, s[2:3], v32, v14, v32
	v_rcp_f32_e32 v35, v29
	v_fma_f32 v20, -v20, v30, v25
	v_div_fmas_f32 v16, v20, v16, v30
	s_mov_b64 vcc, s[0:1]
	v_fma_f32 v20, -v29, v35, 1.0
	v_fmac_f32_e32 v35, v20, v35
	v_mul_f32_e32 v20, v31, v35
	v_fma_f32 v25, -v29, v20, v31
	v_fmac_f32_e32 v20, v25, v35
	v_rcp_f32_e32 v25, v33
	v_fma_f32 v29, -v29, v20, v31
	v_div_fmas_f32 v20, v29, v35, v20
	s_mov_b64 vcc, s[2:3]
	v_fma_f32 v29, -v33, v25, 1.0
	v_fmac_f32_e32 v25, v29, v25
	v_mul_f32_e32 v29, v34, v25
	v_fma_f32 v30, -v33, v29, v34
	v_fmac_f32_e32 v29, v30, v25
	v_fma_f32 v30, -v33, v29, v34
	v_div_fmas_f32 v25, v30, v25, v29
	v_mul_f32_e32 v29, v11, v11
	v_fma_f32 v30, -v17, v11, v29
	v_fmac_f32_e32 v30, v17, v17
	v_mul_f32_e32 v26, v14, v23
	v_mul_f32_e32 v28, v30, v28
	v_div_scale_f32 v30, s[0:1], v26, v26, v28
	v_div_fixup_f32 v6, v8, v17, v6
	v_add_f32_e32 v4, v6, v4
	v_mov_b32_dpp v8, v3 row_ror:4 row_mask:0xf bank_mask:0xf bound_ctrl:1
	v_mov_b32_dpp v6, v5 row_ror:4 row_mask:0xf bank_mask:0xf bound_ctrl:1
	v_cmp_lt_f32_e32 vcc, v5, v6
	v_cndmask_b32_e32 v5, v6, v5, vcc
	v_cmp_gt_f32_e32 vcc, v3, v8
	v_cndmask_b32_e32 v3, v8, v3, vcc
	v_div_fixup_f32 v6, v7, v14, v15
	v_div_scale_f32 v15, vcc, v28, v26, v28
	v_div_fixup_f32 v8, v16, v14, v19
	v_mul_f32_e32 v16, 0x40c00000, v18
	v_mul_f32_e32 v18, v24, v21
	v_fmac_f32_e32 v18, v29, v9
	v_add_f32_e32 v7, v9, v21
	v_mul_f32_e32 v9, v16, v18
	v_div_scale_f32 v16, s[0:1], v23, v23, v9
	v_mov_b32_dpp v22, v13 row_ror:4 row_mask:0xf bank_mask:0xf bound_ctrl:1
	v_add_f32_e32 v6, v6, v12
	v_add_f32_e32 v7, v7, v8
	;; [unrolled: 1-line block ×3, first 2 shown]
	v_div_fixup_f32 v12, v20, v23, v27
	v_add_f32_e32 v8, v8, v12
	v_div_fixup_f32 v12, v25, v14, v32
	v_mul_f32_e32 v17, v17, v22
	v_add_f32_e32 v8, v12, v8
	v_rcp_f32_e32 v12, v30
	v_div_scale_f32 v19, s[0:1], v9, v23, v9
	v_mul_f32_e32 v10, 4.0, v10
	v_fma_f32 v11, v13, v11, -v17
	v_mul_f32_e32 v10, v10, v11
	v_div_scale_f32 v11, s[2:3], v14, v14, v10
	v_fma_f32 v18, -v30, v12, 1.0
	v_fmac_f32_e32 v12, v18, v12
	v_mul_f32_e32 v13, v15, v12
	v_fma_f32 v17, -v30, v13, v15
	v_fmac_f32_e32 v13, v17, v12
	v_div_scale_f32 v17, s[2:3], v10, v14, v10
	v_rcp_f32_e32 v18, v16
	v_fma_f32 v15, -v30, v13, v15
	v_div_fmas_f32 v12, v15, v12, v13
	s_mov_b64 vcc, s[0:1]
	v_fma_f32 v13, -v16, v18, 1.0
	v_fmac_f32_e32 v18, v13, v18
	v_mul_f32_e32 v13, v19, v18
	v_fma_f32 v15, -v16, v13, v19
	v_fmac_f32_e32 v13, v15, v18
	v_rcp_f32_e32 v15, v11
	v_fma_f32 v16, -v16, v13, v19
	v_div_fmas_f32 v13, v16, v18, v13
	s_mov_b64 vcc, s[2:3]
	v_fma_f32 v16, -v11, v15, 1.0
	v_fmac_f32_e32 v15, v16, v15
	v_mul_f32_e32 v16, v17, v15
	v_fma_f32 v18, -v11, v16, v17
	v_fmac_f32_e32 v16, v18, v15
	v_fma_f32 v11, -v11, v16, v17
	v_div_fmas_f32 v11, v11, v15, v16
	v_mov_b32_dpp v16, v6 row_ror:8 row_mask:0xf bank_mask:0xf bound_ctrl:1
	v_mov_b32_dpp v15, v14 row_ror:8 row_mask:0xf bank_mask:0xf bound_ctrl:1
	v_sub_f32_e32 v6, v6, v16
	v_add_f32_e32 v17, v14, v15
	v_mul_f32_e32 v18, v14, v6
	v_div_scale_f32 v19, s[0:1], v17, v17, v18
	v_mul_f32_e32 v20, v6, v6
	v_div_scale_f32 v21, vcc, v18, v17, v18
	v_mul_f32_e32 v22, v20, v15
	v_mul_f32_e32 v22, v14, v22
	v_div_scale_f32 v24, s[0:1], v17, v17, v22
	v_mov_b32_dpp v31, v4 row_ror:4 row_mask:0xf bank_mask:0xf bound_ctrl:1
	v_add_f32_e32 v4, v4, v31
	v_div_fixup_f32 v12, v12, v26, v28
	v_add_f32_e32 v4, v4, v12
	v_div_fixup_f32 v9, v13, v23, v9
	v_add_f32_e32 v4, v9, v4
	v_div_fixup_f32 v9, v11, v14, v10
	v_div_scale_f32 v10, s[0:1], v22, v17, v22
	v_rcp_f32_e32 v11, v19
	v_mul_f32_e32 v12, v6, v20
	v_add_f32_e32 v4, v9, v4
	v_mul_f32_e32 v9, v17, v17
	v_fma_f32 v13, -v19, v11, 1.0
	v_fmac_f32_e32 v11, v13, v11
	v_mul_f32_e32 v13, v21, v11
	v_fma_f32 v25, -v19, v13, v21
	v_fmac_f32_e32 v13, v25, v11
	v_rcp_f32_e32 v25, v24
	v_fma_f32 v19, -v19, v13, v21
	v_div_fmas_f32 v11, v19, v11, v13
	s_mov_b64 vcc, s[0:1]
	v_fma_f32 v13, -v24, v25, 1.0
	v_fmac_f32_e32 v25, v13, v25
	v_mul_f32_e32 v13, v10, v25
	v_fma_f32 v19, -v24, v13, v10
	v_fmac_f32_e32 v13, v19, v25
	v_fma_f32 v10, -v24, v13, v10
	v_div_fmas_f32 v10, v10, v25, v13
	v_mul_f32_e32 v19, v12, v15
	v_mul_f32_e32 v19, v14, v19
	v_sub_f32_e32 v21, v15, v14
	v_mul_f32_e32 v19, v21, v19
	v_div_scale_f32 v21, s[2:3], v9, v9, v19
	v_mov_b32_dpp v13, v5 row_ror:8 row_mask:0xf bank_mask:0xf bound_ctrl:1
	v_mov_b32_dpp v24, v3 row_ror:8 row_mask:0xf bank_mask:0xf bound_ctrl:1
	v_cmp_lt_f32_e32 vcc, v5, v13
	v_cndmask_b32_e32 v5, v13, v5, vcc
	v_cmp_gt_f32_e32 vcc, v3, v24
	v_mov_b32_dpp v25, v7 row_ror:8 row_mask:0xf bank_mask:0xf bound_ctrl:1
	v_cndmask_b32_e32 v3, v24, v3, vcc
	v_div_fixup_f32 v11, v11, v17, v18
	v_div_scale_f32 v18, vcc, v19, v9, v19
	v_mul_f32_e32 v24, v14, v25
	v_div_fixup_f32 v10, v10, v17, v22
	v_mul_f32_e32 v22, 0x40400000, v6
	v_fma_f32 v24, v7, v15, -v24
	v_mul_f32_e32 v22, v22, v24
	v_div_scale_f32 v24, s[0:1], v17, v17, v22
	v_mul_f32_e32 v12, v6, v12
	v_mul_f32_e32 v30, v15, v15
	;; [unrolled: 1-line block ×3, first 2 shown]
	v_fma_f32 v31, -v14, v15, v30
	v_rcp_f32_e32 v13, v21
	v_div_scale_f32 v29, s[0:1], v22, v17, v22
	v_mul_f32_e32 v12, v14, v12
	v_fmac_f32_e32 v31, v14, v14
	v_mul_f32_e32 v28, v17, v9
	v_mul_f32_e32 v12, v31, v12
	v_div_scale_f32 v31, s[2:3], v28, v28, v12
	v_add_f32_e32 v11, v11, v16
	v_add_f32_e32 v16, v7, v25
	;; [unrolled: 1-line block ×3, first 2 shown]
	v_fma_f32 v16, -v21, v13, 1.0
	v_fmac_f32_e32 v13, v16, v13
	v_mul_f32_e32 v16, v18, v13
	v_fma_f32 v32, -v21, v16, v18
	v_fmac_f32_e32 v16, v32, v13
	v_div_scale_f32 v32, s[2:3], v12, v28, v12
	v_rcp_f32_e32 v33, v24
	v_fma_f32 v18, -v21, v16, v18
	v_div_fmas_f32 v13, v18, v13, v16
	v_mul_f32_e32 v23, v23, v25
	v_fma_f32 v16, -v24, v33, 1.0
	v_fmac_f32_e32 v33, v16, v33
	v_mul_f32_e32 v16, v29, v33
	v_fma_f32 v18, -v24, v16, v29
	v_fmac_f32_e32 v16, v18, v33
	v_rcp_f32_e32 v18, v31
	v_mul_f32_e32 v20, 0x40c00000, v20
	v_fmac_f32_e32 v23, v30, v7
	v_fma_f32 v21, -v24, v16, v29
	s_mov_b64 vcc, s[0:1]
	v_mul_f32_e32 v7, v20, v23
	v_div_fmas_f32 v16, v21, v33, v16
	v_fma_f32 v21, -v31, v18, 1.0
	v_div_scale_f32 v20, s[0:1], v9, v9, v7
	v_fmac_f32_e32 v18, v21, v18
	v_mul_f32_e32 v21, v32, v18
	v_fma_f32 v24, -v31, v21, v32
	v_mov_b32_dpp v26, v8 row_ror:8 row_mask:0xf bank_mask:0xf bound_ctrl:1
	v_fmac_f32_e32 v21, v24, v18
	v_fma_f32 v24, -v31, v21, v32
	s_mov_b64 vcc, s[2:3]
	v_mul_f32_e32 v14, v14, v26
	v_div_fmas_f32 v18, v24, v18, v21
	v_div_scale_f32 v21, vcc, v7, v9, v7
	v_mul_f32_e32 v6, 4.0, v6
	v_fma_f32 v14, v8, v15, -v14
	v_mul_f32_e32 v6, v6, v14
	v_div_scale_f32 v14, s[0:1], v17, v17, v6
	v_div_scale_f32 v15, s[0:1], v6, v17, v6
	v_add_f32_e32 v8, v8, v26
	v_div_fixup_f32 v13, v13, v9, v19
	v_add_f32_e32 v8, v8, v13
	v_div_fixup_f32 v13, v16, v17, v22
	v_rcp_f32_e32 v16, v20
	v_add_f32_e32 v8, v13, v8
	v_div_fixup_f32 v12, v18, v28, v12
	v_mov_b32_dpp v27, v4 row_ror:8 row_mask:0xf bank_mask:0xf bound_ctrl:1
	v_fma_f32 v13, -v20, v16, 1.0
	v_fmac_f32_e32 v16, v13, v16
	v_mul_f32_e32 v13, v21, v16
	v_fma_f32 v18, -v20, v13, v21
	v_fmac_f32_e32 v13, v18, v16
	v_rcp_f32_e32 v18, v14
	v_fma_f32 v19, -v20, v13, v21
	v_div_fmas_f32 v13, v19, v16, v13
	s_mov_b64 vcc, s[0:1]
	v_fma_f32 v16, -v14, v18, 1.0
	v_fmac_f32_e32 v18, v16, v18
	v_mul_f32_e32 v16, v15, v18
	v_fma_f32 v19, -v14, v16, v15
	v_fmac_f32_e32 v16, v19, v18
	v_fma_f32 v14, -v14, v16, v15
	v_div_fmas_f32 v14, v14, v18, v16
	v_mov_b32_dpp v16, v11 row_bcast:15 row_mask:0xf bank_mask:0xf bound_ctrl:1
	v_mov_b32_dpp v15, v17 row_bcast:15 row_mask:0xf bank_mask:0xf bound_ctrl:1
	v_sub_f32_e32 v11, v11, v16
	v_add_f32_e32 v18, v17, v15
	v_mul_f32_e32 v19, v17, v11
	v_div_scale_f32 v20, s[0:1], v18, v18, v19
	v_add_f32_e32 v4, v4, v27
	v_add_f32_e32 v4, v4, v12
	v_mul_f32_e32 v12, v11, v11
	v_div_fixup_f32 v7, v13, v9, v7
	v_div_scale_f32 v13, vcc, v19, v18, v19
	v_mul_f32_e32 v21, v12, v15
	v_mul_f32_e32 v21, v17, v21
	v_div_scale_f32 v22, s[0:1], v18, v18, v21
	v_add_f32_e32 v4, v7, v4
	v_div_scale_f32 v7, s[0:1], v21, v18, v21
	v_div_fixup_f32 v6, v14, v17, v6
	v_rcp_f32_e32 v14, v20
	v_mul_f32_e32 v25, v11, v12
	v_mul_f32_e32 v24, v18, v18
	v_add_f32_e32 v4, v6, v4
	v_fma_f32 v26, -v20, v14, 1.0
	v_fmac_f32_e32 v14, v26, v14
	v_mul_f32_e32 v26, v13, v14
	v_fma_f32 v27, -v20, v26, v13
	v_fmac_f32_e32 v26, v27, v14
	v_fma_f32 v13, -v20, v26, v13
	v_rcp_f32_e32 v27, v22
	v_div_fmas_f32 v13, v13, v14, v26
	s_mov_b64 vcc, s[0:1]
	v_mov_b32_dpp v6, v5 row_bcast:15 row_mask:0xf bank_mask:0xf bound_ctrl:1
	v_fma_f32 v14, -v22, v27, 1.0
	v_fmac_f32_e32 v27, v14, v27
	v_mul_f32_e32 v14, v7, v27
	v_fma_f32 v20, -v22, v14, v7
	v_fmac_f32_e32 v14, v20, v27
	v_fma_f32 v7, -v22, v14, v7
	v_div_fmas_f32 v7, v7, v27, v14
	v_mul_f32_e32 v14, v25, v15
	v_mul_f32_e32 v14, v17, v14
	v_sub_f32_e32 v20, v15, v17
	v_mul_f32_e32 v14, v20, v14
	v_div_scale_f32 v20, s[0:1], v24, v24, v14
	v_mov_b32_dpp v23, v3 row_bcast:15 row_mask:0xf bank_mask:0xf bound_ctrl:1
	v_cmp_lt_f32_e32 vcc, v5, v6
	v_mov_b32_dpp v22, v10 row_bcast:15 row_mask:0xf bank_mask:0xf bound_ctrl:1
	v_cndmask_b32_e32 v5, v6, v5, vcc
	v_cmp_gt_f32_e32 vcc, v3, v23
	v_cndmask_b32_e32 v3, v23, v3, vcc
	v_mul_f32_e32 v23, v17, v22
	v_div_fixup_f32 v6, v13, v18, v19
	v_div_scale_f32 v19, vcc, v14, v24, v14
	v_div_fixup_f32 v7, v7, v18, v21
	v_mul_f32_e32 v21, 0x40400000, v11
	v_fma_f32 v23, v10, v15, -v23
	v_mul_f32_e32 v21, v21, v23
	v_div_scale_f32 v23, s[0:1], v18, v18, v21
	v_div_scale_f32 v29, s[0:1], v21, v18, v21
	v_mul_f32_e32 v25, v11, v25
	v_add_f32_e32 v6, v6, v16
	v_rcp_f32_e32 v16, v20
	v_mul_f32_e32 v30, v15, v15
	v_mul_f32_e32 v25, v25, v15
	v_fma_f32 v31, -v17, v15, v30
	v_mul_f32_e32 v25, v17, v25
	v_fmac_f32_e32 v31, v17, v17
	v_mul_f32_e32 v28, v18, v24
	v_mul_f32_e32 v25, v31, v25
	v_div_scale_f32 v31, s[2:3], v28, v28, v25
	v_fma_f32 v32, -v20, v16, 1.0
	v_fmac_f32_e32 v16, v32, v16
	v_mul_f32_e32 v32, v19, v16
	v_fma_f32 v33, -v20, v32, v19
	v_fmac_f32_e32 v32, v33, v16
	v_rcp_f32_e32 v33, v23
	v_fma_f32 v19, -v20, v32, v19
	v_div_fmas_f32 v16, v19, v16, v32
	v_mul_f32_e32 v9, v9, v22
	v_fma_f32 v19, -v23, v33, 1.0
	v_fmac_f32_e32 v33, v19, v33
	v_mul_f32_e32 v19, v29, v33
	v_fma_f32 v20, -v23, v19, v29
	v_fmac_f32_e32 v19, v20, v33
	v_fma_f32 v20, -v23, v19, v29
	v_div_scale_f32 v29, s[2:3], v25, v28, v25
	v_mul_f32_e32 v12, 0x40c00000, v12
	v_fmac_f32_e32 v9, v30, v10
	v_mul_f32_e32 v9, v12, v9
	v_add_f32_e32 v13, v10, v22
	v_div_scale_f32 v10, s[4:5], v24, v24, v9
	v_rcp_f32_e32 v23, v31
	s_mov_b64 vcc, s[0:1]
	v_div_fmas_f32 v12, v20, v33, v19
	v_mov_b32_dpp v26, v8 row_bcast:15 row_mask:0xf bank_mask:0xf bound_ctrl:1
	v_fma_f32 v19, -v31, v23, 1.0
	v_fmac_f32_e32 v23, v19, v23
	v_div_scale_f32 v19, s[0:1], v9, v24, v9
	v_mul_f32_e32 v17, v17, v26
	v_add_f32_e32 v7, v13, v7
	v_add_f32_e32 v13, v8, v26
	v_mul_f32_e32 v11, 4.0, v11
	v_fma_f32 v8, v8, v15, -v17
	v_mul_f32_e32 v8, v11, v8
	v_div_scale_f32 v11, s[4:5], v18, v18, v8
	v_mul_f32_e32 v15, v29, v23
	v_fma_f32 v17, -v31, v15, v29
	v_fmac_f32_e32 v15, v17, v23
	v_rcp_f32_e32 v17, v10
	v_div_scale_f32 v20, s[4:5], v8, v18, v8
	v_fma_f32 v22, -v31, v15, v29
	s_mov_b64 vcc, s[2:3]
	v_div_fmas_f32 v15, v22, v23, v15
	v_fma_f32 v22, -v10, v17, 1.0
	v_fmac_f32_e32 v17, v22, v17
	v_mul_f32_e32 v22, v19, v17
	v_fma_f32 v23, -v10, v22, v19
	v_fmac_f32_e32 v22, v23, v17
	v_fma_f32 v10, -v10, v22, v19
	s_mov_b64 vcc, s[0:1]
	v_div_fmas_f32 v10, v10, v17, v22
	v_rcp_f32_e32 v19, v11
	v_div_fixup_f32 v14, v16, v24, v14
	s_mov_b64 vcc, s[4:5]
	v_mov_b32_dpp v27, v4 row_bcast:15 row_mask:0xf bank_mask:0xf bound_ctrl:1
	v_fma_f32 v16, -v11, v19, 1.0
	v_fmac_f32_e32 v19, v16, v19
	v_mul_f32_e32 v16, v20, v19
	v_fma_f32 v17, -v11, v16, v20
	v_fmac_f32_e32 v16, v17, v19
	v_fma_f32 v11, -v11, v16, v20
	v_div_fmas_f32 v11, v11, v19, v16
	v_add_f32_e32 v13, v13, v14
	v_div_fixup_f32 v12, v12, v18, v21
	v_add_f32_e32 v12, v12, v13
	v_add_f32_e32 v4, v4, v27
	v_div_fixup_f32 v13, v15, v28, v25
	v_add_f32_e32 v4, v4, v13
	v_div_fixup_f32 v9, v10, v24, v9
	v_mov_b32_dpp v13, v6 row_bcast:31 row_mask:0xf bank_mask:0xf bound_ctrl:1
	v_mov_b32_dpp v10, v18 row_bcast:31 row_mask:0xf bank_mask:0xf bound_ctrl:1
	v_sub_f32_e32 v6, v6, v13
	v_add_f32_e32 v14, v18, v10
	v_mul_f32_e32 v15, v18, v6
	v_div_scale_f32 v16, s[0:1], v14, v14, v15
	v_add_f32_e32 v4, v9, v4
	v_div_fixup_f32 v8, v11, v18, v8
	v_add_f32_e32 v4, v8, v4
	v_mul_f32_e32 v22, v6, v6
	v_mov_b32_dpp v8, v5 row_bcast:31 row_mask:0xf bank_mask:0xf bound_ctrl:1
	v_cmp_lt_f32_e32 vcc, v5, v8
	v_cndmask_b32_e32 v5, v8, v5, vcc
	v_div_scale_f32 v26, vcc, v15, v14, v15
	v_mul_f32_e32 v27, v22, v10
	v_mul_f32_e32 v27, v18, v27
	v_div_scale_f32 v28, s[0:1], v14, v14, v27
	v_mov_b32_dpp v9, v3 row_bcast:31 row_mask:0xf bank_mask:0xf bound_ctrl:1
	v_rcp_f32_e32 v8, v16
	v_cmp_gt_f32_e64 s[0:1], v3, v9
	v_cndmask_b32_e64 v29, v9, v3, s[0:1]
	v_mul_f32_e32 v23, v6, v22
	v_fma_f32 v3, -v16, v8, 1.0
	v_fmac_f32_e32 v8, v3, v8
	v_div_scale_f32 v3, s[0:1], v27, v14, v27
	v_mul_f32_e32 v9, v23, v10
	v_mul_f32_e32 v25, v6, v23
	;; [unrolled: 1-line block ×3, first 2 shown]
	v_sub_f32_e32 v23, v10, v18
	v_mul_f32_e32 v20, v14, v14
	v_mul_f32_e32 v9, v23, v9
	v_div_scale_f32 v23, s[2:3], v20, v20, v9
	v_mul_f32_e32 v30, v26, v8
	v_fma_f32 v31, -v16, v30, v26
	v_fmac_f32_e32 v30, v31, v8
	v_rcp_f32_e32 v31, v28
	v_fma_f32 v16, -v16, v30, v26
	v_div_fmas_f32 v8, v16, v8, v30
	v_mov_b32_dpp v11, v7 row_bcast:31 row_mask:0xf bank_mask:0xf bound_ctrl:1
	v_fma_f32 v16, -v28, v31, 1.0
	v_fmac_f32_e32 v31, v16, v31
	v_mul_f32_e32 v16, v3, v31
	v_fma_f32 v26, -v28, v16, v3
	v_fmac_f32_e32 v16, v26, v31
	v_fma_f32 v3, -v28, v16, v3
	s_mov_b64 vcc, s[0:1]
	v_mul_f32_e32 v30, v18, v11
	v_div_fmas_f32 v3, v3, v31, v16
	v_div_scale_f32 v26, vcc, v9, v20, v9
	v_mul_f32_e32 v28, 0x40400000, v6
	v_fma_f32 v30, v7, v10, -v30
	v_mul_f32_e32 v28, v28, v30
	v_div_scale_f32 v30, s[0:1], v14, v14, v28
	v_rcp_f32_e32 v16, v23
	v_mul_f32_e32 v32, v10, v10
	v_mul_f32_e32 v25, v25, v10
	v_fma_f32 v33, -v18, v10, v32
	v_fma_f32 v31, -v23, v16, 1.0
	v_fmac_f32_e32 v16, v31, v16
	v_div_scale_f32 v31, s[0:1], v28, v14, v28
	v_mul_f32_e32 v25, v18, v25
	v_mul_f32_e32 v34, v26, v16
	v_fma_f32 v35, -v23, v34, v26
	v_fmac_f32_e32 v34, v35, v16
	v_fmac_f32_e32 v33, v18, v18
	v_mul_f32_e32 v21, v14, v20
	v_rcp_f32_e32 v35, v30
	v_mul_f32_e32 v25, v33, v25
	v_fma_f32 v23, -v23, v34, v26
	v_div_scale_f32 v33, s[2:3], v21, v21, v25
	v_div_fmas_f32 v16, v23, v16, v34
	v_fma_f32 v23, -v30, v35, 1.0
	v_fmac_f32_e32 v35, v23, v35
	v_mul_f32_e32 v23, v31, v35
	v_fma_f32 v26, -v30, v23, v31
	v_fmac_f32_e32 v23, v26, v35
	v_fma_f32 v26, -v30, v23, v31
	s_mov_b64 vcc, s[0:1]
	v_div_fmas_f32 v23, v26, v35, v23
	v_div_scale_f32 v30, vcc, v25, v21, v25
	v_mul_f32_e32 v24, v24, v11
	v_mul_f32_e32 v22, 0x40c00000, v22
	v_fmac_f32_e32 v24, v32, v7
	v_mul_f32_e32 v22, v22, v24
	v_div_scale_f32 v24, s[0:1], v20, v20, v22
	v_mov_b32_dpp v17, v12 row_bcast:31 row_mask:0xf bank_mask:0xf bound_ctrl:1
	v_mul_f32_e32 v18, v18, v17
	v_rcp_f32_e32 v26, v33
	v_div_scale_f32 v32, s[0:1], v22, v20, v22
	v_mul_f32_e32 v6, 4.0, v6
	v_fma_f32 v10, v12, v10, -v18
	v_mul_f32_e32 v6, v6, v10
	v_div_scale_f32 v10, s[2:3], v14, v14, v6
	v_fma_f32 v31, -v33, v26, 1.0
	v_fmac_f32_e32 v26, v31, v26
	v_mul_f32_e32 v18, v30, v26
	v_fma_f32 v31, -v33, v18, v30
	v_fmac_f32_e32 v18, v31, v26
	v_div_scale_f32 v31, s[2:3], v6, v14, v6
	v_rcp_f32_e32 v34, v24
	v_fma_f32 v30, -v33, v18, v30
	v_div_fmas_f32 v18, v30, v26, v18
	s_mov_b64 vcc, s[0:1]
	v_fma_f32 v26, -v24, v34, 1.0
	v_fmac_f32_e32 v34, v26, v34
	v_mul_f32_e32 v26, v32, v34
	v_fma_f32 v30, -v24, v26, v32
	v_fmac_f32_e32 v26, v30, v34
	v_rcp_f32_e32 v30, v10
	v_fma_f32 v24, -v24, v26, v32
	v_div_fmas_f32 v24, v24, v34, v26
	s_mov_b64 vcc, s[2:3]
	v_fma_f32 v26, -v10, v30, 1.0
	v_fmac_f32_e32 v30, v26, v30
	v_mul_f32_e32 v26, v31, v30
	v_fma_f32 v32, -v10, v26, v31
	v_fmac_f32_e32 v26, v32, v30
	v_fma_f32 v10, -v10, v26, v31
	v_div_fmas_f32 v10, v10, v30, v26
	v_div_fixup_f32 v8, v8, v14, v15
	v_add_f32_e32 v7, v7, v11
	v_div_fixup_f32 v3, v3, v14, v27
	v_add_f32_e32 v13, v8, v13
	v_add_f32_e32 v7, v7, v3
	;; [unrolled: 1-line block ×3, first 2 shown]
	v_div_fixup_f32 v8, v16, v20, v9
	v_mov_b32_dpp v19, v4 row_bcast:31 row_mask:0xf bank_mask:0xf bound_ctrl:1
	v_add_f32_e32 v3, v3, v8
	v_div_fixup_f32 v8, v23, v14, v28
	v_add_f32_e32 v15, v8, v3
	v_add_f32_e32 v3, v4, v19
	v_div_fixup_f32 v4, v18, v21, v25
	v_add_f32_e32 v3, v3, v4
	v_div_fixup_f32 v4, v24, v20, v22
	;; [unrolled: 2-line block ×3, first 2 shown]
	v_add_f32_e32 v4, v4, v3
	v_lshlrev_b32_e32 v3, 2, v2
	v_or_b32_e32 v6, 0xfc, v3
	ds_bpermute_b32 v8, v6, v14
	ds_bpermute_b32 v9, v6, v5
	;; [unrolled: 1-line block ×7, first 2 shown]
	v_cmp_eq_u32_e32 vcc, 0, v2
	s_and_saveexec_b64 s[0:1], vcc
	s_cbranch_execz .LBB31_95
; %bb.94:
	v_lshrrev_b32_e32 v4, 6, v0
	v_mul_u32_u24_e32 v4, 28, v4
	s_waitcnt lgkmcnt(5)
	ds_write2_b32 v4, v8, v9 offset0:28 offset1:29
	s_waitcnt lgkmcnt(4)
	ds_write2_b32 v4, v10, v11 offset0:30 offset1:31
	;; [unrolled: 2-line block ×3, first 2 shown]
	s_waitcnt lgkmcnt(3)
	ds_write_b32 v4, v14 offset:136
.LBB31_95:
	s_or_b64 exec, exec, s[0:1]
	v_cmp_gt_u32_e32 vcc, 64, v0
	s_waitcnt lgkmcnt(0)
	s_barrier
	s_and_saveexec_b64 s[4:5], vcc
	s_cbranch_execz .LBB31_97
; %bb.96:
	v_and_b32_e32 v10, 3, v2
	v_mul_u32_u24_e32 v11, 28, v10
	ds_read2_b32 v[4:5], v11 offset0:28 offset1:29
	ds_read2_b32 v[6:7], v11 offset0:30 offset1:31
	ds_read2_b32 v[8:9], v11 offset0:32 offset1:33
	ds_read_b32 v11, v11 offset:136
	v_cmp_ne_u32_e32 vcc, 3, v10
	v_addc_co_u32_e32 v2, vcc, 0, v2, vcc
	v_lshlrev_b32_e32 v2, 2, v2
	s_waitcnt lgkmcnt(2)
	ds_bpermute_b32 v12, v2, v7
	ds_bpermute_b32 v10, v2, v4
	;; [unrolled: 1-line block ×4, first 2 shown]
	s_waitcnt lgkmcnt(5)
	ds_bpermute_b32 v19, v2, v8
	s_waitcnt lgkmcnt(4)
	v_sub_f32_e32 v12, v12, v7
	s_waitcnt lgkmcnt(3)
	v_add_f32_e32 v13, v4, v10
	v_mul_f32_e32 v14, v12, v10
	v_div_scale_f32 v15, s[0:1], v13, v13, v14
	v_div_scale_f32 v17, vcc, v14, v13, v14
	v_mul_f32_e32 v22, v12, v12
	v_mul_f32_e32 v25, v4, v22
	;; [unrolled: 1-line block ×3, first 2 shown]
	v_div_scale_f32 v27, s[0:1], v13, v13, v25
	v_mul_f32_e32 v24, v12, v22
	v_mul_f32_e32 v21, v13, v13
	s_waitcnt lgkmcnt(1)
	v_cmp_lt_f32_e64 s[2:3], v6, v18
	v_cndmask_b32_e64 v6, v6, v18, s[2:3]
	v_mul_f32_e32 v18, 0x40400000, v12
	ds_bpermute_b32 v20, v2, v9
	v_mul_f32_e32 v23, v13, v21
	v_rcp_f32_e32 v26, v15
	v_mul_f32_e32 v22, 0x40c00000, v22
	ds_bpermute_b32 v2, v2, v11
	v_or_b32_e32 v3, 8, v3
	v_fma_f32 v28, -v15, v26, 1.0
	v_fmac_f32_e32 v26, v28, v26
	v_mul_f32_e32 v28, v17, v26
	v_fma_f32 v29, -v15, v28, v17
	v_fmac_f32_e32 v28, v29, v26
	v_fma_f32 v15, -v15, v28, v17
	v_div_fmas_f32 v15, v15, v26, v28
	v_mul_f32_e32 v26, v4, v24
	v_div_scale_f32 v17, vcc, v25, v13, v25
	v_mul_f32_e32 v26, v26, v10
	v_sub_f32_e32 v28, v4, v10
	v_mul_f32_e32 v26, v28, v26
	v_div_scale_f32 v28, s[0:1], v21, v21, v26
	v_cmp_gt_f32_e64 s[0:1], v5, v16
	v_cndmask_b32_e64 v5, v5, v16, s[0:1]
	v_div_scale_f32 v29, s[0:1], v26, v21, v26
	v_rcp_f32_e32 v16, v27
	v_mul_f32_e32 v24, v12, v24
	v_mul_f32_e32 v24, v4, v24
	v_div_fixup_f32 v14, v15, v13, v14
	v_add_f32_e32 v7, v7, v14
	v_fma_f32 v14, -v27, v16, 1.0
	v_fmac_f32_e32 v16, v14, v16
	v_mul_f32_e32 v14, v17, v16
	v_fma_f32 v15, -v27, v14, v17
	v_fmac_f32_e32 v14, v15, v16
	v_rcp_f32_e32 v15, v28
	v_fma_f32 v17, -v27, v14, v17
	v_div_fmas_f32 v14, v17, v16, v14
	v_mul_f32_e32 v27, v8, v10
	v_fma_f32 v16, -v28, v15, 1.0
	v_fmac_f32_e32 v15, v16, v15
	s_waitcnt lgkmcnt(2)
	v_fma_f32 v27, v4, v19, -v27
	v_mul_f32_e32 v16, v29, v15
	v_mul_f32_e32 v18, v18, v27
	v_fma_f32 v17, -v28, v16, v29
	v_div_scale_f32 v27, s[2:3], v13, v13, v18
	v_fmac_f32_e32 v16, v17, v15
	v_fma_f32 v17, -v28, v16, v29
	s_mov_b64 vcc, s[0:1]
	v_div_fmas_f32 v15, v17, v15, v16
	v_div_scale_f32 v17, vcc, v18, v13, v18
	v_add_f32_e32 v16, v8, v19
	v_div_fixup_f32 v14, v14, v13, v25
	v_mul_f32_e32 v28, v4, v4
	v_add_f32_e32 v14, v16, v14
	v_fma_f32 v29, -v4, v10, v28
	v_mul_f32_e32 v24, v24, v10
	v_fmac_f32_e32 v29, v10, v10
	v_mul_f32_e32 v24, v29, v24
	v_rcp_f32_e32 v16, v27
	s_waitcnt lgkmcnt(1)
	v_add_f32_e32 v25, v9, v20
	v_div_scale_f32 v29, s[0:1], v23, v23, v24
	v_mul_f32_e32 v19, v28, v19
	v_div_fixup_f32 v15, v15, v21, v26
	v_add_f32_e32 v15, v25, v15
	v_fma_f32 v25, -v27, v16, 1.0
	v_fmac_f32_e32 v16, v25, v16
	v_mul_f32_e32 v25, v17, v16
	v_fma_f32 v26, -v27, v25, v17
	v_fmac_f32_e32 v25, v26, v16
	v_fma_f32 v17, -v27, v25, v17
	v_div_fmas_f32 v16, v17, v16, v25
	v_div_scale_f32 v26, vcc, v24, v23, v24
	v_mul_f32_e32 v17, v10, v10
	v_fmac_f32_e32 v19, v8, v17
	v_mul_f32_e32 v8, v22, v19
	v_div_scale_f32 v17, s[0:1], v21, v21, v8
	v_mul_f32_e32 v9, v9, v10
	v_rcp_f32_e32 v25, v29
	v_div_scale_f32 v22, s[0:1], v8, v21, v8
	v_mul_f32_e32 v12, 4.0, v12
	v_fma_f32 v4, v4, v20, -v9
	v_mul_f32_e32 v4, v12, v4
	v_div_scale_f32 v9, s[2:3], v13, v13, v4
	v_fma_f32 v19, -v29, v25, 1.0
	v_fmac_f32_e32 v25, v19, v25
	v_mul_f32_e32 v10, v26, v25
	v_fma_f32 v12, -v29, v10, v26
	v_fmac_f32_e32 v10, v12, v25
	v_div_scale_f32 v12, s[2:3], v4, v13, v4
	v_rcp_f32_e32 v19, v17
	v_fma_f32 v20, -v29, v10, v26
	v_div_fmas_f32 v10, v20, v25, v10
	s_mov_b64 vcc, s[0:1]
	v_fma_f32 v20, -v17, v19, 1.0
	v_fmac_f32_e32 v19, v20, v19
	v_mul_f32_e32 v20, v22, v19
	v_fma_f32 v25, -v17, v20, v22
	v_fmac_f32_e32 v20, v25, v19
	v_rcp_f32_e32 v25, v9
	v_fma_f32 v17, -v17, v20, v22
	v_div_fmas_f32 v17, v17, v19, v20
	s_mov_b64 vcc, s[2:3]
	v_fma_f32 v19, -v9, v25, 1.0
	v_fmac_f32_e32 v25, v19, v25
	v_mul_f32_e32 v19, v12, v25
	v_fma_f32 v20, -v9, v19, v12
	v_fmac_f32_e32 v19, v20, v25
	v_fma_f32 v9, -v9, v19, v12
	v_div_fmas_f32 v9, v9, v25, v19
	v_div_fixup_f32 v12, v16, v13, v18
	v_add_f32_e32 v15, v12, v15
	ds_bpermute_b32 v12, v3, v7
	s_waitcnt lgkmcnt(1)
	v_add_f32_e32 v2, v11, v2
	ds_bpermute_b32 v11, v3, v13
	v_div_fixup_f32 v10, v10, v23, v24
	v_add_f32_e32 v2, v2, v10
	s_waitcnt lgkmcnt(1)
	v_sub_f32_e32 v12, v12, v7
	v_div_fixup_f32 v10, v17, v21, v8
	s_waitcnt lgkmcnt(0)
	v_add_f32_e32 v8, v13, v11
	v_mul_f32_e32 v16, v12, v11
	v_div_scale_f32 v17, s[0:1], v8, v8, v16
	v_add_f32_e32 v2, v10, v2
	v_mul_f32_e32 v23, v12, v12
	v_div_fixup_f32 v4, v9, v13, v4
	v_add_f32_e32 v2, v4, v2
	ds_bpermute_b32 v4, v3, v5
	v_mul_f32_e32 v26, v13, v23
	ds_bpermute_b32 v10, v3, v6
	v_mul_f32_e32 v26, v26, v11
	v_div_scale_f32 v27, s[0:1], v8, v8, v26
	s_waitcnt lgkmcnt(1)
	v_cmp_gt_f32_e32 vcc, v5, v4
	v_cndmask_b32_e32 v9, v5, v4, vcc
	v_div_scale_f32 v5, vcc, v16, v8, v16
	v_rcp_f32_e32 v4, v17
	s_waitcnt lgkmcnt(0)
	v_cmp_lt_f32_e64 s[0:1], v6, v10
	v_cndmask_b32_e64 v10, v6, v10, s[0:1]
	v_mul_f32_e32 v24, v12, v23
	v_fma_f32 v6, -v17, v4, 1.0
	v_fmac_f32_e32 v4, v6, v4
	v_div_scale_f32 v6, s[0:1], v26, v8, v26
	v_mul_f32_e32 v25, v12, v24
	v_mul_f32_e32 v24, v13, v24
	v_mul_f32_e32 v24, v24, v11
	v_sub_f32_e32 v28, v13, v11
	v_mul_f32_e32 v20, v8, v8
	v_mul_f32_e32 v24, v28, v24
	;; [unrolled: 1-line block ×3, first 2 shown]
	v_fma_f32 v30, -v17, v29, v5
	v_fmac_f32_e32 v29, v30, v4
	v_rcp_f32_e32 v30, v27
	v_div_scale_f32 v28, s[2:3], v20, v20, v24
	ds_bpermute_b32 v18, v3, v14
	v_fma_f32 v5, -v17, v29, v5
	v_div_fmas_f32 v4, v5, v4, v29
	v_fma_f32 v5, -v27, v30, 1.0
	v_fmac_f32_e32 v30, v5, v30
	v_mul_f32_e32 v17, v6, v30
	v_fma_f32 v29, -v27, v17, v6
	v_mul_f32_e32 v31, v14, v11
	v_div_scale_f32 v5, s[2:3], v24, v20, v24
	v_fmac_f32_e32 v17, v29, v30
	v_mul_f32_e32 v29, 0x40400000, v12
	s_waitcnt lgkmcnt(0)
	v_fma_f32 v31, v13, v18, -v31
	v_mul_f32_e32 v29, v29, v31
	v_div_scale_f32 v31, s[8:9], v8, v8, v29
	v_fma_f32 v6, -v27, v17, v6
	s_mov_b64 vcc, s[0:1]
	v_div_fmas_f32 v6, v6, v30, v17
	v_div_scale_f32 v30, s[0:1], v29, v8, v29
	v_rcp_f32_e32 v27, v28
	v_mul_f32_e32 v25, v13, v25
	v_fma_f32 v32, -v13, v11, v21
	v_mul_f32_e32 v25, v25, v11
	v_fma_f32 v17, -v28, v27, 1.0
	v_fmac_f32_e32 v27, v17, v27
	v_mul_f32_e32 v17, v5, v27
	v_fma_f32 v33, -v28, v17, v5
	v_fmac_f32_e32 v17, v33, v27
	v_rcp_f32_e32 v33, v31
	v_fmac_f32_e32 v32, v11, v11
	v_mul_f32_e32 v22, v8, v20
	v_mul_f32_e32 v25, v32, v25
	v_fma_f32 v5, -v28, v17, v5
	s_mov_b64 vcc, s[2:3]
	v_div_scale_f32 v32, s[8:9], v22, v22, v25
	v_div_fmas_f32 v5, v5, v27, v17
	v_fma_f32 v17, -v31, v33, 1.0
	v_fmac_f32_e32 v33, v17, v33
	v_mul_f32_e32 v17, v30, v33
	v_fma_f32 v27, -v31, v17, v30
	v_fmac_f32_e32 v17, v27, v33
	v_fma_f32 v27, -v31, v17, v30
	s_mov_b64 vcc, s[0:1]
	v_div_fmas_f32 v17, v27, v33, v17
	v_div_scale_f32 v30, vcc, v25, v22, v25
	v_mul_f32_e32 v27, v11, v11
	v_mul_f32_e32 v21, v21, v18
	;; [unrolled: 1-line block ×3, first 2 shown]
	v_fmac_f32_e32 v21, v27, v14
	v_mul_f32_e32 v21, v23, v21
	v_div_scale_f32 v23, s[0:1], v20, v20, v21
	ds_bpermute_b32 v19, v3, v15
	v_mul_f32_e32 v11, v15, v11
	v_rcp_f32_e32 v28, v32
	v_div_scale_f32 v31, s[0:1], v21, v20, v21
	v_mul_f32_e32 v12, 4.0, v12
	s_waitcnt lgkmcnt(0)
	v_fma_f32 v11, v13, v19, -v11
	v_mul_f32_e32 v33, v12, v11
	v_div_scale_f32 v11, s[2:3], v8, v8, v33
	v_fma_f32 v27, -v32, v28, 1.0
	v_fmac_f32_e32 v28, v27, v28
	v_mul_f32_e32 v12, v30, v28
	v_fma_f32 v13, -v32, v12, v30
	v_fmac_f32_e32 v12, v13, v28
	v_div_scale_f32 v13, s[2:3], v33, v8, v33
	v_rcp_f32_e32 v27, v23
	v_fma_f32 v30, -v32, v12, v30
	v_div_fmas_f32 v28, v30, v28, v12
	s_mov_b64 vcc, s[0:1]
	v_fma_f32 v12, -v23, v27, 1.0
	v_fmac_f32_e32 v27, v12, v27
	v_mul_f32_e32 v12, v31, v27
	v_fma_f32 v30, -v23, v12, v31
	v_fmac_f32_e32 v12, v30, v27
	v_rcp_f32_e32 v30, v11
	v_fma_f32 v23, -v23, v12, v31
	v_div_fmas_f32 v23, v23, v27, v12
	s_mov_b64 vcc, s[2:3]
	v_fma_f32 v12, -v11, v30, 1.0
	v_fmac_f32_e32 v30, v12, v30
	v_mul_f32_e32 v12, v13, v30
	v_fma_f32 v27, -v11, v12, v13
	v_fmac_f32_e32 v12, v27, v30
	v_fma_f32 v11, -v11, v12, v13
	v_div_fmas_f32 v27, v11, v30, v12
	ds_bpermute_b32 v3, v3, v2
	v_div_fixup_f32 v4, v4, v8, v16
	v_add_f32_e32 v11, v7, v4
	v_add_f32_e32 v4, v14, v18
	v_div_fixup_f32 v6, v6, v8, v26
	s_waitcnt lgkmcnt(0)
	v_add_f32_e32 v2, v2, v3
	v_div_fixup_f32 v3, v28, v22, v25
	v_add_f32_e32 v12, v4, v6
	v_add_f32_e32 v4, v15, v19
	v_div_fixup_f32 v5, v5, v20, v24
	v_add_f32_e32 v2, v2, v3
	v_div_fixup_f32 v3, v23, v20, v21
	;; [unrolled: 2-line block ×4, first 2 shown]
	v_add_f32_e32 v13, v5, v4
	v_add_f32_e32 v14, v3, v2
.LBB31_97:
	s_or_b64 exec, exec, s[4:5]
	s_branch .LBB31_125
.LBB31_98:
                                        ; implicit-def: $vgpr7
                                        ; implicit-def: $vgpr4
                                        ; implicit-def: $sgpr6_sgpr7
.LBB31_99:
	s_and_saveexec_b64 s[0:1], s[28:29]
	s_cbranch_execnz .LBB31_130
.LBB31_100:
	s_endpgm
.LBB31_101:
                                        ; implicit-def: $vgpr8
                                        ; implicit-def: $vgpr10
                                        ; implicit-def: $vgpr12
                                        ; implicit-def: $vgpr14
	s_cbranch_execz .LBB31_125
; %bb.102:
	s_sub_i32 s2, s16, s30
	v_cmp_gt_u32_e32 vcc, s2, v0
                                        ; implicit-def: $vgpr11
	s_and_saveexec_b64 s[0:1], vcc
	s_cbranch_execz .LBB31_104
; %bb.103:
	s_lshl_b64 s[4:5], s[30:31], 2
	s_add_u32 s4, s14, s4
	s_addc_u32 s5, s15, s5
	v_lshlrev_b32_e32 v2, 2, v0
	global_load_dword v11, v2, s[4:5]
.LBB31_104:
	s_or_b64 exec, exec, s[0:1]
	v_mbcnt_hi_u32_b32 v1, -1, v1
	v_and_b32_e32 v3, 63, v1
	v_cmp_ne_u32_e32 vcc, 63, v3
	v_addc_co_u32_e32 v5, vcc, 0, v1, vcc
	v_lshlrev_b32_e32 v5, 2, v5
	s_waitcnt vmcnt(0)
	ds_bpermute_b32 v5, v5, v11
	s_min_u32 s10, s2, 0x100
	v_and_b32_e32 v2, 0xc0, v0
	v_sub_u32_e64 v2, s10, v2 clamp
	v_add_u32_e32 v4, 1, v3
	v_mov_b32_e32 v14, 0
	v_cmp_lt_u32_e32 vcc, v4, v2
	v_mov_b32_e32 v4, 1.0
	v_mov_b32_e32 v8, 1.0
	v_mov_b32_e32 v13, 0
	v_mov_b32_e32 v12, 0
	;; [unrolled: 1-line block ×8, first 2 shown]
	s_and_saveexec_b64 s[0:1], vcc
	s_cbranch_execz .LBB31_106
; %bb.105:
	s_waitcnt lgkmcnt(0)
	v_sub_f32_e32 v4, v5, v11
	v_mul_f32_e32 v6, v4, v4
	v_cmp_gt_f32_e32 vcc, v11, v5
	v_mul_f32_e32 v7, v4, v6
	v_cndmask_b32_e32 v9, v11, v5, vcc
	v_cmp_lt_f32_e32 vcc, v11, v5
	v_cndmask_b32_e32 v10, v11, v5, vcc
	v_mul_f32_e32 v5, 0, v7
	s_mov_b32 s2, 0x3e800000
	v_fma_f32 v13, v5, s2, 0
	v_mul_f32_e32 v5, 0x40400000, v4
	v_mul_f32_e32 v5, 0, v5
	;; [unrolled: 1-line block ×3, first 2 shown]
	v_fmac_f32_e32 v13, 0.5, v5
	s_mov_b32 s2, 0x3e000000
	v_mul_f32_e32 v5, 0x40c00000, v6
	v_fmac_f32_e32 v11, 0.5, v4
	v_fma_f32 v14, v8, s2, 0
	v_mul_f32_e32 v5, 0, v5
	v_mul_f32_e32 v4, 4.0, v4
	v_fma_f32 v12, v6, 0.5, 0
	v_fmac_f32_e32 v14, 0x3e800000, v5
	v_mul_f32_e32 v4, 0, v4
	v_fmac_f32_e32 v14, 0.5, v4
	v_mov_b32_e32 v4, 2.0
	v_mov_b32_e32 v8, 2.0
	v_mov_b32_e32 v7, v13
	v_mov_b32_e32 v6, v12
	;; [unrolled: 1-line block ×4, first 2 shown]
.LBB31_106:
	s_or_b64 exec, exec, s[0:1]
	v_cmp_gt_u32_e32 vcc, 62, v3
	s_waitcnt lgkmcnt(0)
	v_cndmask_b32_e64 v5, 0, 2, vcc
	v_add_lshl_u32 v5, v5, v1, 2
	ds_bpermute_b32 v21, v5, v4
	ds_bpermute_b32 v16, v5, v20
	;; [unrolled: 1-line block ×7, first 2 shown]
	v_add_u32_e32 v23, 2, v3
	v_cmp_lt_u32_e32 vcc, v23, v2
	s_and_saveexec_b64 s[8:9], vcc
	s_cbranch_execz .LBB31_108
; %bb.107:
	s_waitcnt lgkmcnt(3)
	v_sub_f32_e32 v6, v22, v11
	v_add_f32_e32 v4, v8, v21
	v_mul_f32_e32 v7, v6, v21
	v_mul_f32_e32 v20, v6, v6
	v_div_scale_f32 v19, s[0:1], v4, v4, v7
	v_mul_f32_e32 v22, v8, v20
	v_mul_f32_e32 v22, v22, v21
	v_div_scale_f32 v23, s[0:1], v4, v4, v22
	v_div_scale_f32 v24, vcc, v7, v4, v7
	v_div_scale_f32 v28, s[0:1], v22, v4, v22
	v_mul_f32_e32 v27, v6, v20
	v_mul_f32_e32 v29, v8, v27
	v_sub_f32_e32 v25, v8, v21
	v_mul_f32_e32 v29, v29, v21
	v_mul_f32_e32 v25, v25, v29
	;; [unrolled: 1-line block ×3, first 2 shown]
	v_rcp_f32_e32 v30, v19
	v_div_scale_f32 v32, s[2:3], v26, v26, v25
	v_mul_f32_e32 v27, v6, v27
	v_rcp_f32_e32 v29, v23
	v_fma_f32 v31, -v19, v30, 1.0
	v_fmac_f32_e32 v30, v31, v30
	v_mul_f32_e32 v31, v24, v30
	v_fma_f32 v33, -v23, v29, 1.0
	v_fmac_f32_e32 v29, v33, v29
	v_fma_f32 v33, -v19, v31, v24
	v_fmac_f32_e32 v31, v33, v30
	v_fma_f32 v19, -v19, v31, v24
	v_mul_f32_e32 v24, v28, v29
	v_div_fmas_f32 v19, v19, v30, v31
	v_fma_f32 v30, -v23, v24, v28
	v_fmac_f32_e32 v24, v30, v29
	v_fma_f32 v23, -v23, v24, v28
	s_mov_b64 vcc, s[0:1]
	v_div_fmas_f32 v23, v23, v29, v24
	v_mul_f32_e32 v29, v12, v21
	v_div_scale_f32 v28, vcc, v25, v26, v25
	s_waitcnt lgkmcnt(2)
	v_fma_f32 v29, v8, v17, -v29
	v_mul_f32_e32 v30, 0x40400000, v6
	v_mul_f32_e32 v29, v30, v29
	v_div_scale_f32 v30, s[0:1], v4, v4, v29
	v_div_scale_f32 v31, s[0:1], v29, v4, v29
	v_rcp_f32_e32 v24, v32
	v_mul_f32_e32 v33, v8, v8
	v_mul_f32_e32 v27, v8, v27
	v_fma_f32 v34, -v8, v21, v33
	v_mul_f32_e32 v27, v27, v21
	v_fmac_f32_e32 v34, v21, v21
	v_mul_f32_e32 v27, v34, v27
	v_mul_f32_e32 v34, v4, v26
	v_fma_f32 v36, -v32, v24, 1.0
	v_div_scale_f32 v35, s[2:3], v34, v34, v27
	v_fmac_f32_e32 v24, v36, v24
	v_mul_f32_e32 v36, v28, v24
	v_fma_f32 v37, -v32, v36, v28
	v_fmac_f32_e32 v36, v37, v24
	v_rcp_f32_e32 v37, v30
	v_fma_f32 v28, -v32, v36, v28
	v_div_fmas_f32 v24, v28, v24, v36
	v_mul_f32_e32 v33, v33, v17
	v_fma_f32 v28, -v30, v37, 1.0
	v_fmac_f32_e32 v37, v28, v37
	v_mul_f32_e32 v28, v31, v37
	v_fma_f32 v32, -v30, v28, v31
	v_fmac_f32_e32 v28, v32, v37
	v_div_scale_f32 v32, s[2:3], v27, v34, v27
	v_mul_f32_e32 v36, v21, v21
	v_fmac_f32_e32 v33, v12, v36
	v_mul_f32_e32 v20, 0x40c00000, v20
	v_mul_f32_e32 v20, v20, v33
	v_div_scale_f32 v33, s[4:5], v26, v26, v20
	v_fma_f32 v30, -v30, v28, v31
	v_rcp_f32_e32 v31, v35
	s_mov_b64 vcc, s[0:1]
	v_div_fmas_f32 v28, v30, v37, v28
	v_mul_f32_e32 v21, v13, v21
	v_fma_f32 v30, -v35, v31, 1.0
	v_fmac_f32_e32 v31, v30, v31
	v_div_scale_f32 v30, s[0:1], v20, v26, v20
	s_waitcnt lgkmcnt(1)
	v_fma_f32 v8, v8, v18, -v21
	v_mul_f32_e32 v6, 4.0, v6
	v_mul_f32_e32 v8, v6, v8
	v_div_scale_f32 v6, s[4:5], v4, v4, v8
	v_mul_f32_e32 v21, v32, v31
	v_fma_f32 v36, -v35, v21, v32
	v_fmac_f32_e32 v21, v36, v31
	v_div_scale_f32 v36, s[4:5], v8, v4, v8
	v_fma_f32 v32, -v35, v21, v32
	v_rcp_f32_e32 v35, v33
	s_mov_b64 vcc, s[2:3]
	v_div_fmas_f32 v21, v32, v31, v21
	v_add_f32_e32 v12, v12, v17
	v_fma_f32 v31, -v33, v35, 1.0
	v_fmac_f32_e32 v35, v31, v35
	v_mul_f32_e32 v31, v30, v35
	v_fma_f32 v32, -v33, v31, v30
	v_fmac_f32_e32 v31, v32, v35
	v_rcp_f32_e32 v32, v6
	v_add_f32_e32 v13, v13, v18
	v_fma_f32 v30, -v33, v31, v30
	s_mov_b64 vcc, s[0:1]
	v_fma_f32 v17, -v6, v32, 1.0
	v_fmac_f32_e32 v32, v17, v32
	v_mul_f32_e32 v17, v36, v32
	v_fma_f32 v18, -v6, v17, v36
	v_fmac_f32_e32 v17, v18, v32
	v_div_fmas_f32 v30, v30, v35, v31
	v_fma_f32 v6, -v6, v17, v36
	s_mov_b64 vcc, s[4:5]
	v_div_fmas_f32 v17, v6, v32, v17
	v_div_fixup_f32 v6, v19, v4, v7
	v_add_f32_e32 v11, v11, v6
	v_div_fixup_f32 v6, v23, v4, v22
	v_div_fixup_f32 v7, v24, v26, v25
	v_add_f32_e32 v6, v12, v6
	v_add_f32_e32 v7, v13, v7
	v_div_fixup_f32 v12, v28, v4, v29
	v_cmp_gt_f32_e32 vcc, v9, v16
	v_add_f32_e32 v7, v12, v7
	s_waitcnt lgkmcnt(0)
	v_add_f32_e32 v5, v14, v5
	v_div_fixup_f32 v12, v21, v34, v27
	v_cndmask_b32_e32 v9, v9, v16, vcc
	v_cmp_lt_f32_e32 vcc, v10, v15
	v_add_f32_e32 v5, v5, v12
	v_div_fixup_f32 v12, v30, v26, v20
	v_cndmask_b32_e32 v10, v10, v15, vcc
	v_add_f32_e32 v5, v12, v5
	v_div_fixup_f32 v8, v17, v4, v8
	v_add_f32_e32 v14, v8, v5
	v_mov_b32_e32 v13, v7
	v_mov_b32_e32 v12, v6
	v_mov_b32_e32 v8, v4
	v_mov_b32_e32 v19, v10
	v_mov_b32_e32 v20, v9
.LBB31_108:
	s_or_b64 exec, exec, s[8:9]
	v_cmp_gt_u32_e32 vcc, 60, v3
	s_waitcnt lgkmcnt(0)
	v_cndmask_b32_e64 v5, 0, 4, vcc
	v_add_lshl_u32 v5, v5, v1, 2
	ds_bpermute_b32 v17, v5, v4
	ds_bpermute_b32 v21, v5, v20
	;; [unrolled: 1-line block ×7, first 2 shown]
	v_add_u32_e32 v23, 4, v3
	v_cmp_lt_u32_e32 vcc, v23, v2
	s_and_saveexec_b64 s[4:5], vcc
	s_cbranch_execz .LBB31_110
; %bb.109:
	s_waitcnt lgkmcnt(3)
	v_sub_f32_e32 v6, v22, v11
	v_add_f32_e32 v4, v8, v17
	v_mul_f32_e32 v7, v6, v17
	v_div_scale_f32 v19, s[0:1], v4, v4, v7
	v_cmp_gt_f32_e64 s[0:1], v9, v21
	v_cndmask_b32_e64 v9, v9, v21, s[0:1]
	v_mul_f32_e32 v21, v6, v6
	v_div_scale_f32 v20, vcc, v7, v4, v7
	v_mul_f32_e32 v23, v8, v21
	v_cmp_lt_f32_e64 s[0:1], v10, v18
	v_mul_f32_e32 v23, v23, v17
	v_cndmask_b32_e64 v10, v10, v18, s[0:1]
	v_div_scale_f32 v25, s[0:1], v4, v4, v23
	v_div_scale_f32 v30, s[0:1], v23, v4, v23
	v_mul_f32_e32 v26, v6, v21
	v_rcp_f32_e32 v24, v19
	v_mul_f32_e32 v27, v6, v26
	v_mul_f32_e32 v26, v8, v26
	;; [unrolled: 1-line block ×3, first 2 shown]
	v_fma_f32 v28, -v19, v24, 1.0
	v_fmac_f32_e32 v24, v28, v24
	v_mul_f32_e32 v28, v20, v24
	v_fma_f32 v29, -v19, v28, v20
	v_fmac_f32_e32 v28, v29, v24
	v_sub_f32_e32 v31, v8, v17
	v_mul_f32_e32 v18, v4, v4
	v_rcp_f32_e32 v29, v25
	v_mul_f32_e32 v26, v31, v26
	v_fma_f32 v19, -v19, v28, v20
	v_div_scale_f32 v31, s[2:3], v18, v18, v26
	v_fma_f32 v20, -v25, v29, 1.0
	v_fmac_f32_e32 v29, v20, v29
	v_div_fmas_f32 v19, v19, v24, v28
	v_mul_f32_e32 v24, v30, v29
	v_fma_f32 v28, -v25, v24, v30
	v_fmac_f32_e32 v24, v28, v29
	v_fma_f32 v25, -v25, v24, v30
	s_mov_b64 vcc, s[0:1]
	v_div_fmas_f32 v24, v25, v29, v24
	v_mul_f32_e32 v29, v12, v17
	v_div_scale_f32 v20, s[2:3], v26, v18, v26
	v_mul_f32_e32 v28, 0x40400000, v6
	s_waitcnt lgkmcnt(2)
	v_fma_f32 v29, v8, v16, -v29
	v_mul_f32_e32 v28, v28, v29
	v_div_scale_f32 v29, s[0:1], v4, v4, v28
	v_div_scale_f32 v32, s[0:1], v28, v4, v28
	v_rcp_f32_e32 v25, v31
	v_mul_f32_e32 v33, v8, v8
	v_mul_f32_e32 v27, v8, v27
	v_fma_f32 v34, -v8, v17, v33
	v_fma_f32 v30, -v31, v25, 1.0
	v_fmac_f32_e32 v25, v30, v25
	v_mul_f32_e32 v27, v27, v17
	v_mul_f32_e32 v30, v20, v25
	v_fma_f32 v35, -v31, v30, v20
	v_fmac_f32_e32 v30, v35, v25
	v_fmac_f32_e32 v34, v17, v17
	v_mul_f32_e32 v22, v4, v18
	v_rcp_f32_e32 v35, v29
	v_mul_f32_e32 v27, v34, v27
	v_fma_f32 v20, -v31, v30, v20
	s_mov_b64 vcc, s[2:3]
	v_div_scale_f32 v34, s[8:9], v22, v22, v27
	v_div_fmas_f32 v20, v20, v25, v30
	v_fma_f32 v25, -v29, v35, 1.0
	v_fmac_f32_e32 v35, v25, v35
	v_mul_f32_e32 v25, v32, v35
	v_fma_f32 v30, -v29, v25, v32
	v_fmac_f32_e32 v25, v30, v35
	v_fma_f32 v29, -v29, v25, v32
	s_mov_b64 vcc, s[0:1]
	v_div_fmas_f32 v25, v29, v35, v25
	v_div_scale_f32 v31, vcc, v27, v22, v27
	v_mul_f32_e32 v29, v17, v17
	v_mul_f32_e32 v32, v33, v16
	;; [unrolled: 1-line block ×3, first 2 shown]
	v_fmac_f32_e32 v32, v12, v29
	v_mul_f32_e32 v21, v21, v32
	v_div_scale_f32 v29, s[0:1], v18, v18, v21
	v_mul_f32_e32 v17, v13, v17
	v_rcp_f32_e32 v30, v34
	v_div_scale_f32 v33, s[0:1], v21, v18, v21
	v_mul_f32_e32 v6, 4.0, v6
	s_waitcnt lgkmcnt(1)
	v_fma_f32 v8, v8, v15, -v17
	v_mul_f32_e32 v8, v6, v8
	v_div_scale_f32 v6, s[2:3], v4, v4, v8
	v_fma_f32 v32, -v34, v30, 1.0
	v_fmac_f32_e32 v30, v32, v30
	v_mul_f32_e32 v17, v31, v30
	v_fma_f32 v32, -v34, v17, v31
	v_fmac_f32_e32 v17, v32, v30
	v_div_scale_f32 v32, s[2:3], v8, v4, v8
	v_rcp_f32_e32 v35, v29
	v_fma_f32 v31, -v34, v17, v31
	v_div_fmas_f32 v17, v31, v30, v17
	s_mov_b64 vcc, s[0:1]
	v_fma_f32 v30, -v29, v35, 1.0
	v_fmac_f32_e32 v35, v30, v35
	v_mul_f32_e32 v30, v33, v35
	v_fma_f32 v31, -v29, v30, v33
	v_fmac_f32_e32 v30, v31, v35
	v_rcp_f32_e32 v31, v6
	v_fma_f32 v29, -v29, v30, v33
	v_div_fmas_f32 v29, v29, v35, v30
	s_mov_b64 vcc, s[2:3]
	v_fma_f32 v30, -v6, v31, 1.0
	v_fmac_f32_e32 v31, v30, v31
	v_mul_f32_e32 v30, v32, v31
	v_fma_f32 v33, -v6, v30, v32
	v_fmac_f32_e32 v30, v33, v31
	v_fma_f32 v6, -v6, v30, v32
	v_div_fmas_f32 v30, v6, v31, v30
	v_div_fixup_f32 v6, v19, v4, v7
	v_add_f32_e32 v11, v11, v6
	v_add_f32_e32 v6, v12, v16
	v_div_fixup_f32 v7, v24, v4, v23
	v_add_f32_e32 v6, v6, v7
	v_add_f32_e32 v7, v13, v15
	v_div_fixup_f32 v12, v20, v18, v26
	v_add_f32_e32 v7, v7, v12
	v_div_fixup_f32 v12, v25, v4, v28
	v_add_f32_e32 v7, v12, v7
	s_waitcnt lgkmcnt(0)
	v_add_f32_e32 v5, v14, v5
	v_div_fixup_f32 v12, v17, v22, v27
	v_add_f32_e32 v5, v5, v12
	v_div_fixup_f32 v12, v29, v18, v21
	;; [unrolled: 2-line block ×3, first 2 shown]
	v_add_f32_e32 v14, v8, v5
	v_mov_b32_e32 v13, v7
	v_mov_b32_e32 v12, v6
	v_mov_b32_e32 v8, v4
	v_mov_b32_e32 v19, v10
	v_mov_b32_e32 v20, v9
.LBB31_110:
	s_or_b64 exec, exec, s[4:5]
	v_cmp_gt_u32_e32 vcc, 56, v3
	s_waitcnt lgkmcnt(0)
	v_cndmask_b32_e64 v5, 0, 8, vcc
	v_add_lshl_u32 v5, v5, v1, 2
	ds_bpermute_b32 v17, v5, v4
	ds_bpermute_b32 v21, v5, v20
	;; [unrolled: 1-line block ×7, first 2 shown]
	v_add_u32_e32 v23, 8, v3
	v_cmp_lt_u32_e32 vcc, v23, v2
	s_and_saveexec_b64 s[4:5], vcc
	s_cbranch_execz .LBB31_112
; %bb.111:
	s_waitcnt lgkmcnt(3)
	v_sub_f32_e32 v6, v22, v11
	v_add_f32_e32 v4, v8, v17
	v_mul_f32_e32 v7, v6, v17
	v_div_scale_f32 v19, s[0:1], v4, v4, v7
	v_cmp_gt_f32_e64 s[0:1], v9, v21
	v_cndmask_b32_e64 v9, v9, v21, s[0:1]
	v_mul_f32_e32 v21, v6, v6
	v_div_scale_f32 v20, vcc, v7, v4, v7
	v_mul_f32_e32 v23, v8, v21
	v_cmp_lt_f32_e64 s[0:1], v10, v18
	v_mul_f32_e32 v23, v23, v17
	v_cndmask_b32_e64 v10, v10, v18, s[0:1]
	v_div_scale_f32 v25, s[0:1], v4, v4, v23
	v_div_scale_f32 v30, s[0:1], v23, v4, v23
	v_mul_f32_e32 v26, v6, v21
	v_rcp_f32_e32 v24, v19
	v_mul_f32_e32 v27, v6, v26
	v_mul_f32_e32 v26, v8, v26
	;; [unrolled: 1-line block ×3, first 2 shown]
	v_fma_f32 v28, -v19, v24, 1.0
	v_fmac_f32_e32 v24, v28, v24
	v_mul_f32_e32 v28, v20, v24
	v_fma_f32 v29, -v19, v28, v20
	v_fmac_f32_e32 v28, v29, v24
	v_sub_f32_e32 v31, v8, v17
	v_mul_f32_e32 v18, v4, v4
	v_rcp_f32_e32 v29, v25
	v_mul_f32_e32 v26, v31, v26
	v_fma_f32 v19, -v19, v28, v20
	v_div_scale_f32 v31, s[2:3], v18, v18, v26
	v_fma_f32 v20, -v25, v29, 1.0
	v_fmac_f32_e32 v29, v20, v29
	v_div_fmas_f32 v19, v19, v24, v28
	v_mul_f32_e32 v24, v30, v29
	v_fma_f32 v28, -v25, v24, v30
	v_fmac_f32_e32 v24, v28, v29
	v_fma_f32 v25, -v25, v24, v30
	s_mov_b64 vcc, s[0:1]
	v_div_fmas_f32 v24, v25, v29, v24
	v_mul_f32_e32 v29, v12, v17
	v_div_scale_f32 v20, s[2:3], v26, v18, v26
	v_mul_f32_e32 v28, 0x40400000, v6
	s_waitcnt lgkmcnt(2)
	v_fma_f32 v29, v8, v16, -v29
	v_mul_f32_e32 v28, v28, v29
	v_div_scale_f32 v29, s[0:1], v4, v4, v28
	v_div_scale_f32 v32, s[0:1], v28, v4, v28
	v_rcp_f32_e32 v25, v31
	v_mul_f32_e32 v33, v8, v8
	v_mul_f32_e32 v27, v8, v27
	v_fma_f32 v34, -v8, v17, v33
	v_fma_f32 v30, -v31, v25, 1.0
	v_fmac_f32_e32 v25, v30, v25
	v_mul_f32_e32 v27, v27, v17
	v_mul_f32_e32 v30, v20, v25
	v_fma_f32 v35, -v31, v30, v20
	v_fmac_f32_e32 v30, v35, v25
	v_fmac_f32_e32 v34, v17, v17
	v_mul_f32_e32 v22, v4, v18
	v_rcp_f32_e32 v35, v29
	v_mul_f32_e32 v27, v34, v27
	v_fma_f32 v20, -v31, v30, v20
	s_mov_b64 vcc, s[2:3]
	v_div_scale_f32 v34, s[8:9], v22, v22, v27
	v_div_fmas_f32 v20, v20, v25, v30
	v_fma_f32 v25, -v29, v35, 1.0
	v_fmac_f32_e32 v35, v25, v35
	v_mul_f32_e32 v25, v32, v35
	v_fma_f32 v30, -v29, v25, v32
	v_fmac_f32_e32 v25, v30, v35
	v_fma_f32 v29, -v29, v25, v32
	s_mov_b64 vcc, s[0:1]
	v_div_fmas_f32 v25, v29, v35, v25
	v_div_scale_f32 v31, vcc, v27, v22, v27
	v_mul_f32_e32 v29, v17, v17
	v_mul_f32_e32 v32, v33, v16
	;; [unrolled: 1-line block ×3, first 2 shown]
	v_fmac_f32_e32 v32, v12, v29
	v_mul_f32_e32 v21, v21, v32
	v_div_scale_f32 v29, s[0:1], v18, v18, v21
	v_mul_f32_e32 v17, v13, v17
	v_rcp_f32_e32 v30, v34
	v_div_scale_f32 v33, s[0:1], v21, v18, v21
	v_mul_f32_e32 v6, 4.0, v6
	s_waitcnt lgkmcnt(1)
	v_fma_f32 v8, v8, v15, -v17
	v_mul_f32_e32 v8, v6, v8
	v_div_scale_f32 v6, s[2:3], v4, v4, v8
	v_fma_f32 v32, -v34, v30, 1.0
	v_fmac_f32_e32 v30, v32, v30
	v_mul_f32_e32 v17, v31, v30
	v_fma_f32 v32, -v34, v17, v31
	v_fmac_f32_e32 v17, v32, v30
	v_div_scale_f32 v32, s[2:3], v8, v4, v8
	v_rcp_f32_e32 v35, v29
	v_fma_f32 v31, -v34, v17, v31
	v_div_fmas_f32 v17, v31, v30, v17
	s_mov_b64 vcc, s[0:1]
	v_fma_f32 v30, -v29, v35, 1.0
	v_fmac_f32_e32 v35, v30, v35
	v_mul_f32_e32 v30, v33, v35
	v_fma_f32 v31, -v29, v30, v33
	v_fmac_f32_e32 v30, v31, v35
	v_rcp_f32_e32 v31, v6
	v_fma_f32 v29, -v29, v30, v33
	v_div_fmas_f32 v29, v29, v35, v30
	s_mov_b64 vcc, s[2:3]
	v_fma_f32 v30, -v6, v31, 1.0
	v_fmac_f32_e32 v31, v30, v31
	v_mul_f32_e32 v30, v32, v31
	v_fma_f32 v33, -v6, v30, v32
	v_fmac_f32_e32 v30, v33, v31
	v_fma_f32 v6, -v6, v30, v32
	v_div_fmas_f32 v30, v6, v31, v30
	v_div_fixup_f32 v6, v19, v4, v7
	v_add_f32_e32 v11, v11, v6
	v_add_f32_e32 v6, v12, v16
	v_div_fixup_f32 v7, v24, v4, v23
	v_add_f32_e32 v6, v6, v7
	v_add_f32_e32 v7, v13, v15
	v_div_fixup_f32 v12, v20, v18, v26
	v_add_f32_e32 v7, v7, v12
	v_div_fixup_f32 v12, v25, v4, v28
	v_add_f32_e32 v7, v12, v7
	s_waitcnt lgkmcnt(0)
	v_add_f32_e32 v5, v14, v5
	v_div_fixup_f32 v12, v17, v22, v27
	v_add_f32_e32 v5, v5, v12
	v_div_fixup_f32 v12, v29, v18, v21
	;; [unrolled: 2-line block ×3, first 2 shown]
	v_add_f32_e32 v14, v8, v5
	v_mov_b32_e32 v13, v7
	v_mov_b32_e32 v12, v6
	;; [unrolled: 1-line block ×5, first 2 shown]
.LBB31_112:
	s_or_b64 exec, exec, s[4:5]
	v_cmp_gt_u32_e32 vcc, 48, v3
	s_waitcnt lgkmcnt(0)
	v_cndmask_b32_e64 v5, 0, 16, vcc
	v_add_lshl_u32 v5, v5, v1, 2
	ds_bpermute_b32 v17, v5, v4
	ds_bpermute_b32 v21, v5, v20
	;; [unrolled: 1-line block ×7, first 2 shown]
	v_add_u32_e32 v23, 16, v3
	v_cmp_lt_u32_e32 vcc, v23, v2
	s_and_saveexec_b64 s[4:5], vcc
	s_cbranch_execz .LBB31_114
; %bb.113:
	s_waitcnt lgkmcnt(3)
	v_sub_f32_e32 v6, v22, v11
	v_add_f32_e32 v4, v8, v17
	v_mul_f32_e32 v7, v6, v17
	v_div_scale_f32 v19, s[0:1], v4, v4, v7
	v_cmp_gt_f32_e64 s[0:1], v9, v21
	v_cndmask_b32_e64 v9, v9, v21, s[0:1]
	v_mul_f32_e32 v21, v6, v6
	v_div_scale_f32 v20, vcc, v7, v4, v7
	v_mul_f32_e32 v23, v8, v21
	v_cmp_lt_f32_e64 s[0:1], v10, v18
	v_mul_f32_e32 v23, v23, v17
	v_cndmask_b32_e64 v10, v10, v18, s[0:1]
	v_div_scale_f32 v25, s[0:1], v4, v4, v23
	v_div_scale_f32 v30, s[0:1], v23, v4, v23
	v_mul_f32_e32 v26, v6, v21
	v_rcp_f32_e32 v24, v19
	v_mul_f32_e32 v27, v6, v26
	v_mul_f32_e32 v26, v8, v26
	;; [unrolled: 1-line block ×3, first 2 shown]
	v_fma_f32 v28, -v19, v24, 1.0
	v_fmac_f32_e32 v24, v28, v24
	v_mul_f32_e32 v28, v20, v24
	v_fma_f32 v29, -v19, v28, v20
	v_fmac_f32_e32 v28, v29, v24
	v_sub_f32_e32 v31, v8, v17
	v_mul_f32_e32 v18, v4, v4
	v_rcp_f32_e32 v29, v25
	v_mul_f32_e32 v26, v31, v26
	v_fma_f32 v19, -v19, v28, v20
	v_div_scale_f32 v31, s[2:3], v18, v18, v26
	v_fma_f32 v20, -v25, v29, 1.0
	v_fmac_f32_e32 v29, v20, v29
	v_div_fmas_f32 v19, v19, v24, v28
	v_mul_f32_e32 v24, v30, v29
	v_fma_f32 v28, -v25, v24, v30
	v_fmac_f32_e32 v24, v28, v29
	v_fma_f32 v25, -v25, v24, v30
	s_mov_b64 vcc, s[0:1]
	v_div_fmas_f32 v24, v25, v29, v24
	v_mul_f32_e32 v29, v12, v17
	v_div_scale_f32 v20, s[2:3], v26, v18, v26
	v_mul_f32_e32 v28, 0x40400000, v6
	s_waitcnt lgkmcnt(2)
	v_fma_f32 v29, v8, v16, -v29
	v_mul_f32_e32 v28, v28, v29
	v_div_scale_f32 v29, s[0:1], v4, v4, v28
	v_div_scale_f32 v32, s[0:1], v28, v4, v28
	v_rcp_f32_e32 v25, v31
	v_mul_f32_e32 v33, v8, v8
	v_mul_f32_e32 v27, v8, v27
	v_fma_f32 v34, -v8, v17, v33
	v_fma_f32 v30, -v31, v25, 1.0
	v_fmac_f32_e32 v25, v30, v25
	v_mul_f32_e32 v27, v27, v17
	v_mul_f32_e32 v30, v20, v25
	v_fma_f32 v35, -v31, v30, v20
	v_fmac_f32_e32 v30, v35, v25
	v_fmac_f32_e32 v34, v17, v17
	v_mul_f32_e32 v22, v4, v18
	v_rcp_f32_e32 v35, v29
	v_mul_f32_e32 v27, v34, v27
	v_fma_f32 v20, -v31, v30, v20
	s_mov_b64 vcc, s[2:3]
	v_div_scale_f32 v34, s[8:9], v22, v22, v27
	v_div_fmas_f32 v20, v20, v25, v30
	v_fma_f32 v25, -v29, v35, 1.0
	v_fmac_f32_e32 v35, v25, v35
	v_mul_f32_e32 v25, v32, v35
	v_fma_f32 v30, -v29, v25, v32
	v_fmac_f32_e32 v25, v30, v35
	v_fma_f32 v29, -v29, v25, v32
	s_mov_b64 vcc, s[0:1]
	v_div_fmas_f32 v25, v29, v35, v25
	v_div_scale_f32 v31, vcc, v27, v22, v27
	v_mul_f32_e32 v29, v17, v17
	v_mul_f32_e32 v32, v33, v16
	;; [unrolled: 1-line block ×3, first 2 shown]
	v_fmac_f32_e32 v32, v12, v29
	v_mul_f32_e32 v21, v21, v32
	v_div_scale_f32 v29, s[0:1], v18, v18, v21
	v_mul_f32_e32 v17, v13, v17
	v_rcp_f32_e32 v30, v34
	v_div_scale_f32 v33, s[0:1], v21, v18, v21
	v_mul_f32_e32 v6, 4.0, v6
	s_waitcnt lgkmcnt(1)
	v_fma_f32 v8, v8, v15, -v17
	v_mul_f32_e32 v8, v6, v8
	v_div_scale_f32 v6, s[2:3], v4, v4, v8
	v_fma_f32 v32, -v34, v30, 1.0
	v_fmac_f32_e32 v30, v32, v30
	v_mul_f32_e32 v17, v31, v30
	v_fma_f32 v32, -v34, v17, v31
	v_fmac_f32_e32 v17, v32, v30
	v_div_scale_f32 v32, s[2:3], v8, v4, v8
	v_rcp_f32_e32 v35, v29
	v_fma_f32 v31, -v34, v17, v31
	v_div_fmas_f32 v17, v31, v30, v17
	s_mov_b64 vcc, s[0:1]
	v_fma_f32 v30, -v29, v35, 1.0
	v_fmac_f32_e32 v35, v30, v35
	v_mul_f32_e32 v30, v33, v35
	v_fma_f32 v31, -v29, v30, v33
	v_fmac_f32_e32 v30, v31, v35
	v_rcp_f32_e32 v31, v6
	v_fma_f32 v29, -v29, v30, v33
	v_div_fmas_f32 v29, v29, v35, v30
	s_mov_b64 vcc, s[2:3]
	v_fma_f32 v30, -v6, v31, 1.0
	v_fmac_f32_e32 v31, v30, v31
	v_mul_f32_e32 v30, v32, v31
	v_fma_f32 v33, -v6, v30, v32
	v_fmac_f32_e32 v30, v33, v31
	v_fma_f32 v6, -v6, v30, v32
	v_div_fmas_f32 v30, v6, v31, v30
	v_div_fixup_f32 v6, v19, v4, v7
	v_add_f32_e32 v11, v11, v6
	v_add_f32_e32 v6, v12, v16
	v_div_fixup_f32 v7, v24, v4, v23
	v_add_f32_e32 v6, v6, v7
	v_add_f32_e32 v7, v13, v15
	v_div_fixup_f32 v12, v20, v18, v26
	v_add_f32_e32 v7, v7, v12
	v_div_fixup_f32 v12, v25, v4, v28
	v_add_f32_e32 v7, v12, v7
	s_waitcnt lgkmcnt(0)
	v_add_f32_e32 v5, v14, v5
	v_div_fixup_f32 v12, v17, v22, v27
	v_add_f32_e32 v5, v5, v12
	v_div_fixup_f32 v12, v29, v18, v21
	;; [unrolled: 2-line block ×3, first 2 shown]
	v_add_f32_e32 v14, v8, v5
	v_mov_b32_e32 v13, v7
	v_mov_b32_e32 v12, v6
	;; [unrolled: 1-line block ×5, first 2 shown]
.LBB31_114:
	s_or_b64 exec, exec, s[4:5]
	s_waitcnt lgkmcnt(0)
	v_lshlrev_b32_e32 v5, 2, v1
	v_or_b32_e32 v21, 0x80, v5
	ds_bpermute_b32 v16, v21, v4
	ds_bpermute_b32 v18, v21, v20
	;; [unrolled: 1-line block ×7, first 2 shown]
	v_add_u32_e32 v3, 32, v3
	v_cmp_lt_u32_e32 vcc, v3, v2
	s_and_saveexec_b64 s[4:5], vcc
	s_cbranch_execz .LBB31_116
; %bb.115:
	s_waitcnt lgkmcnt(3)
	v_sub_f32_e32 v3, v19, v11
	v_add_f32_e32 v2, v8, v16
	v_mul_f32_e32 v7, v3, v16
	v_div_scale_f32 v19, s[0:1], v2, v2, v7
	v_cmp_gt_f32_e64 s[0:1], v9, v18
	v_cndmask_b32_e64 v9, v9, v18, s[0:1]
	v_mul_f32_e32 v18, v3, v3
	v_div_scale_f32 v20, vcc, v7, v2, v7
	v_mul_f32_e32 v22, v8, v18
	v_cmp_lt_f32_e64 s[0:1], v10, v17
	v_mul_f32_e32 v22, v22, v16
	v_cndmask_b32_e64 v10, v10, v17, s[0:1]
	v_div_scale_f32 v24, s[0:1], v2, v2, v22
	v_div_scale_f32 v29, s[0:1], v22, v2, v22
	v_mul_f32_e32 v25, v3, v18
	v_rcp_f32_e32 v23, v19
	v_mul_f32_e32 v26, v3, v25
	v_mul_f32_e32 v25, v8, v25
	;; [unrolled: 1-line block ×3, first 2 shown]
	v_fma_f32 v27, -v19, v23, 1.0
	v_fmac_f32_e32 v23, v27, v23
	v_mul_f32_e32 v27, v20, v23
	v_fma_f32 v28, -v19, v27, v20
	v_fmac_f32_e32 v27, v28, v23
	v_sub_f32_e32 v30, v8, v16
	v_mul_f32_e32 v17, v2, v2
	v_rcp_f32_e32 v28, v24
	v_mul_f32_e32 v25, v30, v25
	v_fma_f32 v19, -v19, v27, v20
	v_div_scale_f32 v30, s[2:3], v17, v17, v25
	v_fma_f32 v20, -v24, v28, 1.0
	v_fmac_f32_e32 v28, v20, v28
	v_div_fmas_f32 v19, v19, v23, v27
	v_mul_f32_e32 v23, v29, v28
	v_fma_f32 v27, -v24, v23, v29
	v_fmac_f32_e32 v23, v27, v28
	v_fma_f32 v24, -v24, v23, v29
	s_mov_b64 vcc, s[0:1]
	v_div_fmas_f32 v23, v24, v28, v23
	v_mul_f32_e32 v28, v12, v16
	v_div_scale_f32 v20, s[2:3], v25, v17, v25
	v_mul_f32_e32 v27, 0x40400000, v3
	s_waitcnt lgkmcnt(2)
	v_fma_f32 v28, v8, v15, -v28
	v_mul_f32_e32 v27, v27, v28
	v_div_scale_f32 v28, s[0:1], v2, v2, v27
	v_div_scale_f32 v31, s[0:1], v27, v2, v27
	v_rcp_f32_e32 v24, v30
	v_mul_f32_e32 v32, v8, v8
	v_mul_f32_e32 v26, v8, v26
	v_fma_f32 v33, -v8, v16, v32
	v_fma_f32 v29, -v30, v24, 1.0
	v_fmac_f32_e32 v24, v29, v24
	v_mul_f32_e32 v26, v26, v16
	v_mul_f32_e32 v29, v20, v24
	v_fma_f32 v34, -v30, v29, v20
	v_fmac_f32_e32 v29, v34, v24
	v_fmac_f32_e32 v33, v16, v16
	v_mul_f32_e32 v21, v2, v17
	v_rcp_f32_e32 v34, v28
	v_mul_f32_e32 v26, v33, v26
	v_fma_f32 v20, -v30, v29, v20
	s_mov_b64 vcc, s[2:3]
	v_div_scale_f32 v33, s[8:9], v21, v21, v26
	v_div_fmas_f32 v20, v20, v24, v29
	v_fma_f32 v24, -v28, v34, 1.0
	v_fmac_f32_e32 v34, v24, v34
	v_mul_f32_e32 v24, v31, v34
	v_fma_f32 v29, -v28, v24, v31
	v_fmac_f32_e32 v24, v29, v34
	v_fma_f32 v28, -v28, v24, v31
	s_mov_b64 vcc, s[0:1]
	v_div_fmas_f32 v24, v28, v34, v24
	v_div_scale_f32 v30, vcc, v26, v21, v26
	v_mul_f32_e32 v28, v16, v16
	v_mul_f32_e32 v31, v32, v15
	;; [unrolled: 1-line block ×3, first 2 shown]
	v_fmac_f32_e32 v31, v12, v28
	v_mul_f32_e32 v18, v18, v31
	v_div_scale_f32 v28, s[0:1], v17, v17, v18
	v_mul_f32_e32 v16, v13, v16
	v_rcp_f32_e32 v29, v33
	v_div_scale_f32 v32, s[0:1], v18, v17, v18
	v_mul_f32_e32 v3, 4.0, v3
	s_waitcnt lgkmcnt(1)
	v_fma_f32 v8, v8, v6, -v16
	v_mul_f32_e32 v3, v3, v8
	v_div_scale_f32 v8, s[2:3], v2, v2, v3
	v_fma_f32 v31, -v33, v29, 1.0
	v_fmac_f32_e32 v29, v31, v29
	v_mul_f32_e32 v16, v30, v29
	v_fma_f32 v31, -v33, v16, v30
	v_fmac_f32_e32 v16, v31, v29
	v_div_scale_f32 v31, s[2:3], v3, v2, v3
	v_rcp_f32_e32 v34, v28
	v_fma_f32 v30, -v33, v16, v30
	v_div_fmas_f32 v16, v30, v29, v16
	s_mov_b64 vcc, s[0:1]
	v_fma_f32 v29, -v28, v34, 1.0
	v_fmac_f32_e32 v34, v29, v34
	v_mul_f32_e32 v29, v32, v34
	v_fma_f32 v30, -v28, v29, v32
	v_fmac_f32_e32 v29, v30, v34
	v_rcp_f32_e32 v30, v8
	v_fma_f32 v28, -v28, v29, v32
	v_div_fmas_f32 v28, v28, v34, v29
	s_mov_b64 vcc, s[2:3]
	v_fma_f32 v29, -v8, v30, 1.0
	v_fmac_f32_e32 v30, v29, v30
	v_mul_f32_e32 v29, v31, v30
	v_fma_f32 v32, -v8, v29, v31
	v_fmac_f32_e32 v29, v32, v30
	v_fma_f32 v8, -v8, v29, v31
	v_div_fmas_f32 v8, v8, v30, v29
	v_div_fixup_f32 v7, v19, v2, v7
	v_add_f32_e32 v11, v11, v7
	v_add_f32_e32 v7, v12, v15
	v_div_fixup_f32 v12, v23, v2, v22
	v_add_f32_e32 v7, v7, v12
	v_add_f32_e32 v6, v13, v6
	v_div_fixup_f32 v12, v20, v17, v25
	v_add_f32_e32 v6, v6, v12
	v_div_fixup_f32 v12, v24, v2, v27
	v_add_f32_e32 v13, v12, v6
	s_waitcnt lgkmcnt(0)
	v_add_f32_e32 v4, v14, v4
	v_div_fixup_f32 v12, v16, v21, v26
	v_add_f32_e32 v4, v4, v12
	v_div_fixup_f32 v12, v28, v17, v18
	;; [unrolled: 2-line block ×3, first 2 shown]
	v_add_f32_e32 v14, v3, v4
	v_mov_b32_e32 v12, v7
	v_mov_b32_e32 v8, v2
.LBB31_116:
	s_or_b64 exec, exec, s[4:5]
	v_cmp_eq_u32_e32 vcc, 0, v1
	s_and_saveexec_b64 s[0:1], vcc
	s_cbranch_execz .LBB31_118
; %bb.117:
	v_lshrrev_b32_e32 v2, 6, v0
	v_mul_u32_u24_e32 v2, 28, v2
	ds_write2_b32 v2, v8, v9 offset1:1
	ds_write2_b32 v2, v10, v11 offset0:2 offset1:3
	ds_write2_b32 v2, v12, v13 offset0:4 offset1:5
	ds_write_b32 v2, v14 offset:24
.LBB31_118:
	s_or_b64 exec, exec, s[0:1]
	v_cmp_gt_u32_e32 vcc, 4, v0
	s_waitcnt lgkmcnt(0)
	s_barrier
	s_and_saveexec_b64 s[4:5], vcc
	s_cbranch_execz .LBB31_124
; %bb.119:
	v_mul_u32_u24_e32 v2, 28, v1
	ds_read2_b32 v[8:9], v2 offset1:1
	ds_read2_b32 v[10:11], v2 offset0:2 offset1:3
	ds_read2_b32 v[12:13], v2 offset0:4 offset1:5
	ds_read_b32 v14, v2 offset:24
	v_and_b32_e32 v2, 3, v1
	v_cmp_ne_u32_e32 vcc, 3, v2
	v_addc_co_u32_e32 v1, vcc, 0, v1, vcc
	v_lshlrev_b32_e32 v1, 2, v1
	s_waitcnt lgkmcnt(3)
	ds_bpermute_b32 v7, v1, v8
	ds_bpermute_b32 v18, v1, v9
	s_waitcnt lgkmcnt(4)
	ds_bpermute_b32 v17, v1, v10
	ds_bpermute_b32 v19, v1, v11
	;; [unrolled: 3-line block ×3, first 2 shown]
	s_waitcnt lgkmcnt(6)
	ds_bpermute_b32 v3, v1, v14
	s_add_i32 s10, s10, 63
	s_lshr_b32 s10, s10, 6
	v_add_u32_e32 v15, 1, v2
	v_cmp_gt_u32_e32 vcc, s10, v15
	v_mov_b32_e32 v16, v13
	v_mov_b32_e32 v15, v12
	;; [unrolled: 1-line block ×3, first 2 shown]
	s_and_saveexec_b64 s[8:9], vcc
	s_cbranch_execz .LBB31_121
; %bb.120:
	s_waitcnt lgkmcnt(3)
	v_sub_f32_e32 v15, v19, v11
	v_add_f32_e32 v1, v8, v7
	v_mul_f32_e32 v16, v15, v7
	v_div_scale_f32 v19, s[0:1], v1, v1, v16
	v_cmp_gt_f32_e64 s[0:1], v9, v18
	v_cndmask_b32_e64 v9, v9, v18, s[0:1]
	v_mul_f32_e32 v18, v15, v15
	v_div_scale_f32 v20, vcc, v16, v1, v16
	v_mul_f32_e32 v22, v8, v18
	v_cmp_lt_f32_e64 s[0:1], v10, v17
	v_mul_f32_e32 v22, v22, v7
	v_cndmask_b32_e64 v10, v10, v17, s[0:1]
	v_div_scale_f32 v24, s[0:1], v1, v1, v22
	v_div_scale_f32 v29, s[0:1], v22, v1, v22
	v_mul_f32_e32 v25, v15, v18
	v_rcp_f32_e32 v23, v19
	v_mul_f32_e32 v26, v15, v25
	v_mul_f32_e32 v25, v8, v25
	v_mul_f32_e32 v25, v25, v7
	v_fma_f32 v27, -v19, v23, 1.0
	v_fmac_f32_e32 v23, v27, v23
	v_mul_f32_e32 v27, v20, v23
	v_fma_f32 v28, -v19, v27, v20
	v_fmac_f32_e32 v27, v28, v23
	v_sub_f32_e32 v30, v8, v7
	v_mul_f32_e32 v17, v1, v1
	v_rcp_f32_e32 v28, v24
	v_mul_f32_e32 v25, v30, v25
	v_fma_f32 v19, -v19, v27, v20
	v_div_scale_f32 v30, s[2:3], v17, v17, v25
	v_fma_f32 v20, -v24, v28, 1.0
	v_fmac_f32_e32 v28, v20, v28
	v_div_fmas_f32 v19, v19, v23, v27
	v_mul_f32_e32 v23, v29, v28
	v_fma_f32 v27, -v24, v23, v29
	v_fmac_f32_e32 v23, v27, v28
	v_fma_f32 v24, -v24, v23, v29
	s_mov_b64 vcc, s[0:1]
	v_div_fmas_f32 v23, v24, v28, v23
	v_mul_f32_e32 v28, v12, v7
	v_div_scale_f32 v20, s[2:3], v25, v17, v25
	v_mul_f32_e32 v27, 0x40400000, v15
	s_waitcnt lgkmcnt(2)
	v_fma_f32 v28, v8, v6, -v28
	v_mul_f32_e32 v27, v27, v28
	v_div_scale_f32 v28, s[0:1], v1, v1, v27
	v_div_scale_f32 v31, s[0:1], v27, v1, v27
	v_rcp_f32_e32 v24, v30
	v_mul_f32_e32 v32, v8, v8
	v_mul_f32_e32 v26, v8, v26
	v_fma_f32 v33, -v8, v7, v32
	v_fma_f32 v29, -v30, v24, 1.0
	v_fmac_f32_e32 v24, v29, v24
	v_mul_f32_e32 v26, v26, v7
	v_mul_f32_e32 v29, v20, v24
	v_fma_f32 v34, -v30, v29, v20
	v_fmac_f32_e32 v29, v34, v24
	v_fmac_f32_e32 v33, v7, v7
	v_mul_f32_e32 v21, v1, v17
	v_rcp_f32_e32 v34, v28
	v_mul_f32_e32 v26, v33, v26
	v_fma_f32 v20, -v30, v29, v20
	s_mov_b64 vcc, s[2:3]
	v_div_scale_f32 v33, s[12:13], v21, v21, v26
	v_div_fmas_f32 v20, v20, v24, v29
	v_fma_f32 v24, -v28, v34, 1.0
	v_fmac_f32_e32 v34, v24, v34
	v_mul_f32_e32 v24, v31, v34
	v_fma_f32 v29, -v28, v24, v31
	v_fmac_f32_e32 v24, v29, v34
	v_fma_f32 v28, -v28, v24, v31
	s_mov_b64 vcc, s[0:1]
	v_div_fmas_f32 v24, v28, v34, v24
	v_div_scale_f32 v30, vcc, v26, v21, v26
	v_mul_f32_e32 v28, v7, v7
	v_mul_f32_e32 v31, v32, v6
	;; [unrolled: 1-line block ×3, first 2 shown]
	v_fmac_f32_e32 v31, v12, v28
	v_mul_f32_e32 v18, v18, v31
	v_div_scale_f32 v28, s[0:1], v17, v17, v18
	v_mul_f32_e32 v7, v13, v7
	v_rcp_f32_e32 v29, v33
	v_div_scale_f32 v32, s[0:1], v18, v17, v18
	v_mul_f32_e32 v15, 4.0, v15
	s_waitcnt lgkmcnt(1)
	v_fma_f32 v7, v8, v4, -v7
	v_mul_f32_e32 v7, v15, v7
	v_div_scale_f32 v8, s[2:3], v1, v1, v7
	v_fma_f32 v31, -v33, v29, 1.0
	v_fmac_f32_e32 v29, v31, v29
	v_mul_f32_e32 v15, v30, v29
	v_fma_f32 v31, -v33, v15, v30
	v_fmac_f32_e32 v15, v31, v29
	v_div_scale_f32 v31, s[2:3], v7, v1, v7
	v_rcp_f32_e32 v34, v28
	v_fma_f32 v30, -v33, v15, v30
	v_div_fmas_f32 v29, v30, v29, v15
	s_mov_b64 vcc, s[0:1]
	v_fma_f32 v15, -v28, v34, 1.0
	v_fmac_f32_e32 v34, v15, v34
	v_mul_f32_e32 v15, v32, v34
	v_fma_f32 v30, -v28, v15, v32
	v_fmac_f32_e32 v15, v30, v34
	v_rcp_f32_e32 v30, v8
	v_fma_f32 v28, -v28, v15, v32
	v_div_fmas_f32 v28, v28, v34, v15
	s_mov_b64 vcc, s[2:3]
	v_fma_f32 v15, -v8, v30, 1.0
	v_fmac_f32_e32 v30, v15, v30
	v_mul_f32_e32 v15, v31, v30
	v_fma_f32 v32, -v8, v15, v31
	v_fmac_f32_e32 v15, v32, v30
	v_fma_f32 v8, -v8, v15, v31
	v_div_fmas_f32 v8, v8, v30, v15
	v_div_fixup_f32 v15, v19, v1, v16
	v_add_f32_e32 v6, v12, v6
	v_div_fixup_f32 v12, v23, v1, v22
	v_add_f32_e32 v11, v11, v15
	v_add_f32_e32 v15, v6, v12
	;; [unrolled: 1-line block ×3, first 2 shown]
	v_div_fixup_f32 v6, v20, v17, v25
	v_add_f32_e32 v4, v4, v6
	v_div_fixup_f32 v6, v24, v1, v27
	v_add_f32_e32 v16, v6, v4
	s_waitcnt lgkmcnt(0)
	v_add_f32_e32 v3, v14, v3
	v_div_fixup_f32 v4, v29, v21, v26
	v_add_f32_e32 v3, v3, v4
	v_div_fixup_f32 v4, v28, v17, v18
	;; [unrolled: 2-line block ×3, first 2 shown]
	v_add_f32_e32 v14, v4, v3
	v_mov_b32_e32 v13, v16
	v_mov_b32_e32 v12, v15
	;; [unrolled: 1-line block ×3, first 2 shown]
.LBB31_121:
	s_or_b64 exec, exec, s[8:9]
	s_waitcnt lgkmcnt(5)
	v_or_b32_e32 v18, 8, v5
	ds_bpermute_b32 v5, v18, v1
	ds_bpermute_b32 v7, v18, v9
	s_waitcnt lgkmcnt(4)
	ds_bpermute_b32 v6, v18, v10
	ds_bpermute_b32 v17, v18, v11
	s_waitcnt lgkmcnt(5)
	ds_bpermute_b32 v4, v18, v15
	s_waitcnt lgkmcnt(5)
	ds_bpermute_b32 v3, v18, v16
	ds_bpermute_b32 v1, v18, v14
	v_add_u32_e32 v2, 2, v2
	v_cmp_gt_u32_e32 vcc, s10, v2
	s_and_saveexec_b64 s[8:9], vcc
	s_cbranch_execz .LBB31_123
; %bb.122:
	s_waitcnt lgkmcnt(3)
	v_sub_f32_e32 v15, v17, v11
	v_add_f32_e32 v2, v8, v5
	v_mul_f32_e32 v16, v15, v5
	v_div_scale_f32 v17, s[0:1], v2, v2, v16
	v_cmp_gt_f32_e64 s[0:1], v9, v7
	v_cndmask_b32_e64 v9, v9, v7, s[0:1]
	v_mul_f32_e32 v7, v15, v15
	v_div_scale_f32 v18, vcc, v16, v2, v16
	v_mul_f32_e32 v20, v8, v7
	v_cmp_lt_f32_e64 s[0:1], v10, v6
	v_mul_f32_e32 v20, v20, v5
	v_cndmask_b32_e64 v10, v10, v6, s[0:1]
	v_div_scale_f32 v22, s[0:1], v2, v2, v20
	v_div_scale_f32 v27, s[0:1], v20, v2, v20
	v_mul_f32_e32 v23, v15, v7
	v_rcp_f32_e32 v21, v17
	v_mul_f32_e32 v24, v15, v23
	v_mul_f32_e32 v23, v8, v23
	;; [unrolled: 1-line block ×3, first 2 shown]
	v_fma_f32 v25, -v17, v21, 1.0
	v_fmac_f32_e32 v21, v25, v21
	v_mul_f32_e32 v25, v18, v21
	v_fma_f32 v26, -v17, v25, v18
	v_fmac_f32_e32 v25, v26, v21
	v_sub_f32_e32 v28, v8, v5
	v_mul_f32_e32 v6, v2, v2
	v_rcp_f32_e32 v26, v22
	v_mul_f32_e32 v23, v28, v23
	v_fma_f32 v17, -v17, v25, v18
	v_div_scale_f32 v28, s[2:3], v6, v6, v23
	v_fma_f32 v18, -v22, v26, 1.0
	v_fmac_f32_e32 v26, v18, v26
	v_div_fmas_f32 v17, v17, v21, v25
	v_mul_f32_e32 v21, v27, v26
	v_fma_f32 v25, -v22, v21, v27
	v_fmac_f32_e32 v21, v25, v26
	v_fma_f32 v22, -v22, v21, v27
	s_mov_b64 vcc, s[0:1]
	v_div_fmas_f32 v21, v22, v26, v21
	v_mul_f32_e32 v26, v12, v5
	v_div_scale_f32 v18, s[2:3], v23, v6, v23
	v_mul_f32_e32 v25, 0x40400000, v15
	s_waitcnt lgkmcnt(2)
	v_fma_f32 v26, v8, v4, -v26
	v_mul_f32_e32 v25, v25, v26
	v_div_scale_f32 v26, s[0:1], v2, v2, v25
	v_div_scale_f32 v29, s[0:1], v25, v2, v25
	v_rcp_f32_e32 v22, v28
	v_mul_f32_e32 v30, v8, v8
	v_mul_f32_e32 v24, v8, v24
	v_fma_f32 v31, -v8, v5, v30
	v_fma_f32 v27, -v28, v22, 1.0
	v_fmac_f32_e32 v22, v27, v22
	v_mul_f32_e32 v24, v24, v5
	v_mul_f32_e32 v27, v18, v22
	v_fma_f32 v32, -v28, v27, v18
	v_fmac_f32_e32 v27, v32, v22
	v_fmac_f32_e32 v31, v5, v5
	v_mul_f32_e32 v19, v2, v6
	v_rcp_f32_e32 v32, v26
	v_mul_f32_e32 v24, v31, v24
	v_fma_f32 v18, -v28, v27, v18
	s_mov_b64 vcc, s[2:3]
	v_div_scale_f32 v31, s[10:11], v19, v19, v24
	v_div_fmas_f32 v18, v18, v22, v27
	v_fma_f32 v22, -v26, v32, 1.0
	v_fmac_f32_e32 v32, v22, v32
	v_mul_f32_e32 v22, v29, v32
	v_fma_f32 v27, -v26, v22, v29
	v_fmac_f32_e32 v22, v27, v32
	v_fma_f32 v26, -v26, v22, v29
	s_mov_b64 vcc, s[0:1]
	v_div_fmas_f32 v22, v26, v32, v22
	v_div_scale_f32 v28, vcc, v24, v19, v24
	v_mul_f32_e32 v26, v5, v5
	v_mul_f32_e32 v29, v30, v4
	;; [unrolled: 1-line block ×3, first 2 shown]
	v_fmac_f32_e32 v29, v12, v26
	v_mul_f32_e32 v7, v7, v29
	v_div_scale_f32 v26, s[0:1], v6, v6, v7
	v_mul_f32_e32 v5, v13, v5
	v_rcp_f32_e32 v27, v31
	v_div_scale_f32 v30, s[0:1], v7, v6, v7
	v_mul_f32_e32 v15, 4.0, v15
	s_waitcnt lgkmcnt(1)
	v_fma_f32 v5, v8, v3, -v5
	v_mul_f32_e32 v5, v15, v5
	v_div_scale_f32 v8, s[2:3], v2, v2, v5
	v_fma_f32 v29, -v31, v27, 1.0
	v_fmac_f32_e32 v27, v29, v27
	v_mul_f32_e32 v15, v28, v27
	v_fma_f32 v29, -v31, v15, v28
	v_fmac_f32_e32 v15, v29, v27
	v_div_scale_f32 v29, s[2:3], v5, v2, v5
	v_rcp_f32_e32 v32, v26
	v_fma_f32 v28, -v31, v15, v28
	v_div_fmas_f32 v15, v28, v27, v15
	s_mov_b64 vcc, s[0:1]
	v_fma_f32 v27, -v26, v32, 1.0
	v_fmac_f32_e32 v32, v27, v32
	v_mul_f32_e32 v27, v30, v32
	v_fma_f32 v28, -v26, v27, v30
	v_fmac_f32_e32 v27, v28, v32
	v_rcp_f32_e32 v28, v8
	v_fma_f32 v26, -v26, v27, v30
	v_div_fmas_f32 v26, v26, v32, v27
	s_mov_b64 vcc, s[2:3]
	v_fma_f32 v27, -v8, v28, 1.0
	v_fmac_f32_e32 v28, v27, v28
	v_mul_f32_e32 v27, v29, v28
	v_fma_f32 v30, -v8, v27, v29
	v_fmac_f32_e32 v27, v30, v28
	v_fma_f32 v8, -v8, v27, v29
	v_div_fmas_f32 v8, v8, v28, v27
	v_add_f32_e32 v4, v12, v4
	v_div_fixup_f32 v12, v21, v2, v20
	v_add_f32_e32 v4, v4, v12
	v_add_f32_e32 v3, v13, v3
	v_div_fixup_f32 v12, v18, v6, v23
	v_add_f32_e32 v3, v3, v12
	v_div_fixup_f32 v12, v22, v2, v25
	v_add_f32_e32 v13, v12, v3
	s_waitcnt lgkmcnt(0)
	v_add_f32_e32 v1, v14, v1
	v_div_fixup_f32 v12, v15, v19, v24
	v_add_f32_e32 v1, v1, v12
	v_div_fixup_f32 v6, v26, v6, v7
	v_div_fixup_f32 v16, v17, v2, v16
	v_add_f32_e32 v1, v6, v1
	v_add_f32_e32 v11, v11, v16
	v_div_fixup_f32 v5, v8, v2, v5
	v_add_f32_e32 v14, v5, v1
	v_mov_b32_e32 v8, v2
	v_mov_b32_e32 v12, v4
.LBB31_123:
	s_or_b64 exec, exec, s[8:9]
.LBB31_124:
	s_or_b64 exec, exec, s[4:5]
.LBB31_125:
	v_cmp_eq_u32_e32 vcc, 0, v0
                                        ; implicit-def: $vgpr7
                                        ; implicit-def: $vgpr4
	s_and_saveexec_b64 s[4:5], vcc
	s_cbranch_execz .LBB31_129
; %bb.126:
	s_cmp_eq_u64 s[16:17], 0
	s_waitcnt lgkmcnt(5)
	v_mov_b32_e32 v7, s26
	s_waitcnt lgkmcnt(4)
	v_mov_b32_e32 v6, s25
	v_mov_b32_e32 v5, s24
	s_waitcnt lgkmcnt(2)
	v_mov_b32_e32 v4, s23
	s_waitcnt lgkmcnt(1)
	v_mov_b32_e32 v3, s22
	v_mov_b32_e32 v2, s21
	s_waitcnt lgkmcnt(0)
	v_mov_b32_e32 v1, s20
	s_cbranch_scc1 .LBB31_128
; %bb.127:
	v_subrev_f32_e32 v0, s23, v11
	v_add_f32_e32 v1, s20, v8
	v_mul_f32_e32 v4, v0, v8
	v_div_scale_f32 v5, s[0:1], v1, v1, v4
	v_mul_f32_e32 v11, v0, v0
	v_div_scale_f32 v6, vcc, v4, v1, v4
	v_mul_f32_e32 v16, s20, v11
	v_mov_b32_e32 v2, s21
	v_cmp_gt_f32_e64 s[0:1], s21, v9
	v_mul_f32_e32 v16, v8, v16
	v_cndmask_b32_e64 v2, v2, v9, s[0:1]
	v_div_scale_f32 v19, s[0:1], v1, v1, v16
	v_mov_b32_e32 v3, s22
	v_cmp_lt_f32_e64 s[0:1], s22, v10
	v_cndmask_b32_e64 v3, v3, v10, s[0:1]
	v_div_scale_f32 v21, s[0:1], v16, v1, v16
	v_rcp_f32_e32 v18, v5
	v_mul_f32_e32 v15, v0, v11
	v_mul_f32_e32 v17, v0, v15
	;; [unrolled: 1-line block ×3, first 2 shown]
	v_fma_f32 v10, -v5, v18, 1.0
	v_fmac_f32_e32 v18, v10, v18
	v_mul_f32_e32 v10, v6, v18
	v_fma_f32 v20, -v5, v10, v6
	v_fmac_f32_e32 v10, v20, v18
	v_rcp_f32_e32 v20, v19
	v_mul_f32_e32 v15, v8, v15
	v_sub_f32_e32 v22, s20, v8
	v_mul_f32_e32 v7, v1, v1
	v_mul_f32_e32 v15, v22, v15
	v_fma_f32 v5, -v5, v10, v6
	v_fma_f32 v6, -v19, v20, 1.0
	v_div_scale_f32 v22, s[2:3], v7, v7, v15
	v_fmac_f32_e32 v20, v6, v20
	v_div_fmas_f32 v5, v5, v18, v10
	v_mul_f32_e32 v10, v21, v20
	v_fma_f32 v18, -v19, v10, v21
	v_fmac_f32_e32 v10, v18, v20
	v_fma_f32 v18, -v19, v10, v21
	s_mov_b64 vcc, s[0:1]
	v_div_fmas_f32 v10, v18, v20, v10
	v_mul_f32_e32 v20, s24, v8
	v_div_scale_f32 v6, s[2:3], v15, v7, v15
	v_mul_f32_e32 v19, 0x40400000, v0
	v_fma_f32 v20, s20, v12, -v20
	v_mul_f32_e32 v19, v19, v20
	v_div_scale_f32 v20, s[0:1], v1, v1, v19
	v_div_scale_f32 v23, s[0:1], v19, v1, v19
	v_rcp_f32_e32 v18, v22
	v_mul_f32_e64 v24, s20, s20
	v_mul_f32_e32 v17, s20, v17
	v_fma_f32 v25, -s20, v8, v24
	v_fma_f32 v21, -v22, v18, 1.0
	v_fmac_f32_e32 v18, v21, v18
	v_mul_f32_e32 v17, v8, v17
	v_mul_f32_e32 v21, v6, v18
	v_fma_f32 v26, -v22, v21, v6
	v_fmac_f32_e32 v21, v26, v18
	v_fmac_f32_e32 v25, v8, v8
	v_mul_f32_e32 v9, v1, v7
	v_rcp_f32_e32 v26, v20
	v_mul_f32_e32 v17, v25, v17
	v_fma_f32 v6, -v22, v21, v6
	s_mov_b64 vcc, s[2:3]
	v_div_scale_f32 v25, s[8:9], v9, v9, v17
	v_div_fmas_f32 v6, v6, v18, v21
	v_fma_f32 v18, -v20, v26, 1.0
	v_fmac_f32_e32 v26, v18, v26
	v_mul_f32_e32 v18, v23, v26
	v_fma_f32 v21, -v20, v18, v23
	v_fmac_f32_e32 v18, v21, v26
	v_fma_f32 v20, -v20, v18, v23
	s_mov_b64 vcc, s[0:1]
	v_div_fmas_f32 v18, v20, v26, v18
	v_mul_f32_e32 v20, v8, v8
	v_div_scale_f32 v22, vcc, v17, v9, v17
	v_mul_f32_e32 v20, s24, v20
	v_mul_f32_e32 v11, 0x40c00000, v11
	v_fmac_f32_e32 v20, v24, v12
	v_mul_f32_e32 v11, v11, v20
	v_div_scale_f32 v20, s[0:1], v7, v7, v11
	v_mul_f32_e32 v8, s25, v8
	v_rcp_f32_e32 v21, v25
	v_div_scale_f32 v24, s[0:1], v11, v7, v11
	v_mul_f32_e32 v0, 4.0, v0
	v_fma_f32 v8, s20, v13, -v8
	v_mul_f32_e32 v0, v0, v8
	v_div_scale_f32 v8, s[2:3], v1, v1, v0
	v_fma_f32 v23, -v25, v21, 1.0
	v_fmac_f32_e32 v21, v23, v21
	v_mul_f32_e32 v23, v22, v21
	v_fma_f32 v26, -v25, v23, v22
	v_fmac_f32_e32 v23, v26, v21
	v_div_scale_f32 v26, s[2:3], v0, v1, v0
	v_rcp_f32_e32 v27, v20
	v_fma_f32 v22, -v25, v23, v22
	v_div_fmas_f32 v21, v22, v21, v23
	s_mov_b64 vcc, s[0:1]
	v_fma_f32 v22, -v20, v27, 1.0
	v_fmac_f32_e32 v27, v22, v27
	v_mul_f32_e32 v22, v24, v27
	v_fma_f32 v23, -v20, v22, v24
	v_fmac_f32_e32 v22, v23, v27
	v_rcp_f32_e32 v23, v8
	v_fma_f32 v20, -v20, v22, v24
	v_div_fmas_f32 v20, v20, v27, v22
	s_mov_b64 vcc, s[2:3]
	v_fma_f32 v22, -v8, v23, 1.0
	v_fmac_f32_e32 v23, v22, v23
	v_mul_f32_e32 v22, v26, v23
	v_fma_f32 v24, -v8, v22, v26
	v_fmac_f32_e32 v22, v24, v23
	v_fma_f32 v8, -v8, v22, v26
	v_div_fmas_f32 v8, v8, v23, v22
	v_div_fixup_f32 v4, v5, v1, v4
	v_add_f32_e32 v5, s24, v12
	v_div_fixup_f32 v10, v10, v1, v16
	v_add_f32_e32 v5, v5, v10
	v_add_f32_e32 v10, s25, v13
	v_div_fixup_f32 v6, v6, v7, v15
	v_add_f32_e32 v6, v10, v6
	v_div_fixup_f32 v10, v18, v1, v19
	v_add_f32_e32 v6, v10, v6
	v_add_f32_e32 v10, s26, v14
	;; [unrolled: 5-line block ×3, first 2 shown]
	v_div_fixup_f32 v0, v8, v1, v0
	v_add_f32_e32 v7, v0, v7
.LBB31_128:
	s_or_b64 s[28:29], s[28:29], exec
.LBB31_129:
	s_or_b64 exec, exec, s[4:5]
	s_and_saveexec_b64 s[0:1], s[28:29]
	s_cbranch_execz .LBB31_100
.LBB31_130:
	s_mul_i32 s0, s7, 28
	s_mul_hi_u32 s1, s6, 28
	s_add_i32 s1, s1, s0
	s_mul_i32 s0, s6, 28
	s_add_u32 s0, s18, s0
	s_addc_u32 s1, s19, s1
	v_mov_b32_e32 v0, 0
	s_waitcnt lgkmcnt(0)
	global_store_dwordx4 v0, v[1:4], s[0:1]
	global_store_dwordx3 v0, v[5:7], s[0:1] offset:16
	s_endpgm
.LBB31_131:
	v_sub_f32_e32 v4, v3, v11
	v_mul_f32_e32 v5, v4, v4
	v_cmp_lt_f32_e64 s[2:3], v3, v11
	v_mul_f32_e32 v6, v4, v5
	v_cndmask_b32_e64 v9, v11, v3, s[2:3]
	v_cmp_lt_f32_e64 s[2:3], v11, v3
	v_cndmask_b32_e64 v10, v11, v3, s[2:3]
	v_mul_f32_e32 v3, 0, v6
	s_mov_b32 s2, 0x3e800000
	v_fma_f32 v13, v3, s2, 0
	v_mul_f32_e32 v3, 0x40400000, v4
	v_mul_f32_e32 v3, 0, v3
	;; [unrolled: 1-line block ×3, first 2 shown]
	v_fmac_f32_e32 v13, 0.5, v3
	s_mov_b32 s2, 0x3e000000
	v_mul_f32_e32 v3, 0x40c00000, v5
	v_fma_f32 v14, v7, s2, 0
	v_mul_f32_e32 v3, 0, v3
	v_fmac_f32_e32 v14, 0x3e800000, v3
	v_mul_f32_e32 v3, 4.0, v4
	v_mul_f32_e32 v3, 0, v3
	v_fmac_f32_e32 v11, 0.5, v4
	v_mul_f32_e32 v12, 0.5, v5
	v_fmac_f32_e32 v14, 0.5, v3
	v_mov_b32_e32 v8, 2.0
	s_or_b64 exec, exec, s[4:5]
	s_and_saveexec_b64 s[10:11], vcc
	s_cbranch_execz .LBB31_31
.LBB31_132:
	v_add_f32_e32 v3, 1.0, v8
	v_sub_f32_e32 v4, v2, v11
	v_div_scale_f32 v6, s[2:3], v3, v3, v4
	v_mul_f32_e32 v5, v4, v4
	v_mul_f32_e32 v7, v5, v8
	v_div_scale_f32 v15, s[2:3], v3, v3, v7
	v_div_scale_f32 v16, vcc, v4, v3, v4
	v_div_scale_f32 v20, s[2:3], v7, v3, v7
	v_mul_f32_e32 v19, v4, v5
	v_add_f32_e32 v17, -1.0, v8
	v_mul_f32_e32 v22, v8, v19
	v_mul_f32_e32 v17, v17, v22
	;; [unrolled: 1-line block ×4, first 2 shown]
	v_rcp_f32_e32 v21, v6
	v_fma_f32 v26, v8, v8, -v8
	v_mul_f32_e32 v19, v8, v19
	v_add_f32_e32 v26, 1.0, v26
	v_rcp_f32_e32 v22, v15
	v_fma_f32 v23, -v6, v21, 1.0
	v_fmac_f32_e32 v21, v23, v21
	v_mul_f32_e32 v23, v16, v21
	v_fma_f32 v25, -v6, v23, v16
	v_fma_f32 v24, -v15, v22, 1.0
	v_fmac_f32_e32 v23, v25, v21
	v_fma_f32 v6, -v6, v23, v16
	v_fmac_f32_e32 v22, v24, v22
	v_div_fmas_f32 v6, v6, v21, v23
	v_div_scale_f32 v16, s[4:5], v18, v18, v17
	v_mul_f32_e32 v21, v20, v22
	v_fma_f32 v23, -v15, v21, v20
	v_fmac_f32_e32 v21, v23, v22
	v_fma_f32 v15, -v15, v21, v20
	s_mov_b64 vcc, s[2:3]
	v_div_fmas_f32 v15, v15, v22, v21
	v_div_scale_f32 v22, vcc, v17, v18, v17
	v_mul_f32_e32 v23, 0x40400000, v4
	v_mul_f32_e64 v23, -v12, v23
	v_div_scale_f32 v24, s[2:3], v3, v3, v23
	v_div_scale_f32 v25, s[2:3], v23, v3, v23
	v_rcp_f32_e32 v21, v16
	v_mul_f32_e32 v20, v3, v18
	v_mul_f32_e32 v19, v19, v26
	v_div_scale_f32 v26, s[4:5], v20, v20, v19
	v_mul_f32_e32 v8, v8, v8
	v_mul_f32_e32 v5, 0x40c00000, v5
	v_div_fixup_f32 v7, v15, v3, v7
	v_fma_f32 v15, -v16, v21, 1.0
	v_fmac_f32_e32 v21, v15, v21
	v_mul_f32_e32 v15, v22, v21
	v_fma_f32 v27, -v16, v15, v22
	v_fmac_f32_e32 v15, v27, v21
	v_rcp_f32_e32 v27, v24
	v_fma_f32 v16, -v16, v15, v22
	v_div_fmas_f32 v15, v16, v21, v15
	v_add_f32_e32 v7, v12, v7
	v_fma_f32 v16, -v24, v27, 1.0
	v_fmac_f32_e32 v27, v16, v27
	v_mul_f32_e32 v16, v25, v27
	v_fma_f32 v21, -v24, v16, v25
	v_fmac_f32_e32 v16, v21, v27
	v_fma_f32 v21, -v24, v16, v25
	v_div_scale_f32 v24, s[4:5], v19, v20, v19
	v_fmac_f32_e32 v12, 0, v8
	v_mul_f32_e32 v5, v5, v12
	v_div_scale_f32 v8, s[8:9], v18, v18, v5
	s_mov_b64 vcc, s[2:3]
	v_rcp_f32_e32 v22, v26
	v_div_fmas_f32 v12, v21, v27, v16
	v_div_scale_f32 v21, s[2:3], v5, v18, v5
	v_mul_f32_e32 v25, 4.0, v4
	v_mul_f32_e64 v25, v25, -v13
	v_div_scale_f32 v27, s[8:9], v3, v3, v25
	v_fma_f32 v16, -v26, v22, 1.0
	v_fmac_f32_e32 v22, v16, v22
	v_mul_f32_e32 v16, v24, v22
	v_fma_f32 v28, -v26, v16, v24
	v_fmac_f32_e32 v16, v28, v22
	v_div_scale_f32 v28, s[8:9], v25, v3, v25
	v_rcp_f32_e32 v29, v8
	v_fma_f32 v24, -v26, v16, v24
	s_mov_b64 vcc, s[4:5]
	v_div_fmas_f32 v16, v24, v22, v16
	v_fma_f32 v22, -v8, v29, 1.0
	v_fmac_f32_e32 v29, v22, v29
	v_mul_f32_e32 v22, v21, v29
	v_fma_f32 v24, -v8, v22, v21
	v_fmac_f32_e32 v22, v24, v29
	v_rcp_f32_e32 v24, v27
	v_fma_f32 v8, -v8, v22, v21
	s_mov_b64 vcc, s[2:3]
	v_div_fmas_f32 v8, v8, v29, v22
	v_fma_f32 v21, -v27, v24, 1.0
	v_fmac_f32_e32 v24, v21, v24
	v_mul_f32_e32 v21, v28, v24
	v_fma_f32 v22, -v27, v21, v28
	v_fmac_f32_e32 v21, v22, v24
	v_fma_f32 v22, -v27, v21, v28
	s_mov_b64 vcc, s[8:9]
	v_div_fmas_f32 v21, v22, v24, v21
	v_cmp_lt_f32_e32 vcc, v2, v9
	v_cndmask_b32_e32 v9, v9, v2, vcc
	v_cmp_lt_f32_e32 vcc, v10, v2
	v_cndmask_b32_e32 v10, v10, v2, vcc
	v_div_fixup_f32 v2, v6, v3, v4
	v_add_f32_e32 v11, v11, v2
	v_div_fixup_f32 v2, v15, v18, v17
	v_add_f32_e32 v2, v13, v2
	;; [unrolled: 2-line block ×3, first 2 shown]
	v_add_f32_e32 v4, 0, v14
	v_div_fixup_f32 v6, v16, v20, v19
	v_add_f32_e32 v4, v4, v6
	v_div_fixup_f32 v5, v8, v18, v5
	;; [unrolled: 2-line block ×3, first 2 shown]
	v_add_f32_e32 v14, v5, v4
	v_mov_b32_e32 v12, v7
	v_mov_b32_e32 v8, v3
	s_or_b64 exec, exec, s[10:11]
	s_and_saveexec_b64 s[8:9], s[0:1]
	s_cbranch_execnz .LBB31_32
	s_branch .LBB31_33
	.section	.rodata,"a",@progbits
	.p2align	6, 0x0
	.amdhsa_kernel _ZN7rocprim17ROCPRIM_400000_NS6detail17trampoline_kernelINS0_14default_configENS1_22reduce_config_selectorI18summary_stats_dataIfEEEZNS1_11reduce_implILb1ES3_N6thrust23THRUST_200600_302600_NS11hip_rocprim26transform_input_iterator_tIS6_NSA_6detail15normal_iteratorINSA_10device_ptrIfEEEE22summary_stats_unary_opIfEEEPS6_S6_23summary_stats_binary_opIfEEE10hipError_tPvRmT1_T2_T3_mT4_P12ihipStream_tbEUlT_E1_NS1_11comp_targetILNS1_3genE2ELNS1_11target_archE906ELNS1_3gpuE6ELNS1_3repE0EEENS1_30default_config_static_selectorELNS0_4arch9wavefront6targetE1EEEvSR_
		.amdhsa_group_segment_fixed_size 448
		.amdhsa_private_segment_fixed_size 0
		.amdhsa_kernarg_size 72
		.amdhsa_user_sgpr_count 6
		.amdhsa_user_sgpr_private_segment_buffer 1
		.amdhsa_user_sgpr_dispatch_ptr 0
		.amdhsa_user_sgpr_queue_ptr 0
		.amdhsa_user_sgpr_kernarg_segment_ptr 1
		.amdhsa_user_sgpr_dispatch_id 0
		.amdhsa_user_sgpr_flat_scratch_init 0
		.amdhsa_user_sgpr_private_segment_size 0
		.amdhsa_uses_dynamic_stack 0
		.amdhsa_system_sgpr_private_segment_wavefront_offset 0
		.amdhsa_system_sgpr_workgroup_id_x 1
		.amdhsa_system_sgpr_workgroup_id_y 0
		.amdhsa_system_sgpr_workgroup_id_z 0
		.amdhsa_system_sgpr_workgroup_info 0
		.amdhsa_system_vgpr_workitem_id 0
		.amdhsa_next_free_vgpr 38
		.amdhsa_next_free_sgpr 35
		.amdhsa_reserve_vcc 1
		.amdhsa_reserve_flat_scratch 0
		.amdhsa_float_round_mode_32 0
		.amdhsa_float_round_mode_16_64 0
		.amdhsa_float_denorm_mode_32 3
		.amdhsa_float_denorm_mode_16_64 3
		.amdhsa_dx10_clamp 1
		.amdhsa_ieee_mode 1
		.amdhsa_fp16_overflow 0
		.amdhsa_exception_fp_ieee_invalid_op 0
		.amdhsa_exception_fp_denorm_src 0
		.amdhsa_exception_fp_ieee_div_zero 0
		.amdhsa_exception_fp_ieee_overflow 0
		.amdhsa_exception_fp_ieee_underflow 0
		.amdhsa_exception_fp_ieee_inexact 0
		.amdhsa_exception_int_div_zero 0
	.end_amdhsa_kernel
	.section	.text._ZN7rocprim17ROCPRIM_400000_NS6detail17trampoline_kernelINS0_14default_configENS1_22reduce_config_selectorI18summary_stats_dataIfEEEZNS1_11reduce_implILb1ES3_N6thrust23THRUST_200600_302600_NS11hip_rocprim26transform_input_iterator_tIS6_NSA_6detail15normal_iteratorINSA_10device_ptrIfEEEE22summary_stats_unary_opIfEEEPS6_S6_23summary_stats_binary_opIfEEE10hipError_tPvRmT1_T2_T3_mT4_P12ihipStream_tbEUlT_E1_NS1_11comp_targetILNS1_3genE2ELNS1_11target_archE906ELNS1_3gpuE6ELNS1_3repE0EEENS1_30default_config_static_selectorELNS0_4arch9wavefront6targetE1EEEvSR_,"axG",@progbits,_ZN7rocprim17ROCPRIM_400000_NS6detail17trampoline_kernelINS0_14default_configENS1_22reduce_config_selectorI18summary_stats_dataIfEEEZNS1_11reduce_implILb1ES3_N6thrust23THRUST_200600_302600_NS11hip_rocprim26transform_input_iterator_tIS6_NSA_6detail15normal_iteratorINSA_10device_ptrIfEEEE22summary_stats_unary_opIfEEEPS6_S6_23summary_stats_binary_opIfEEE10hipError_tPvRmT1_T2_T3_mT4_P12ihipStream_tbEUlT_E1_NS1_11comp_targetILNS1_3genE2ELNS1_11target_archE906ELNS1_3gpuE6ELNS1_3repE0EEENS1_30default_config_static_selectorELNS0_4arch9wavefront6targetE1EEEvSR_,comdat
.Lfunc_end31:
	.size	_ZN7rocprim17ROCPRIM_400000_NS6detail17trampoline_kernelINS0_14default_configENS1_22reduce_config_selectorI18summary_stats_dataIfEEEZNS1_11reduce_implILb1ES3_N6thrust23THRUST_200600_302600_NS11hip_rocprim26transform_input_iterator_tIS6_NSA_6detail15normal_iteratorINSA_10device_ptrIfEEEE22summary_stats_unary_opIfEEEPS6_S6_23summary_stats_binary_opIfEEE10hipError_tPvRmT1_T2_T3_mT4_P12ihipStream_tbEUlT_E1_NS1_11comp_targetILNS1_3genE2ELNS1_11target_archE906ELNS1_3gpuE6ELNS1_3repE0EEENS1_30default_config_static_selectorELNS0_4arch9wavefront6targetE1EEEvSR_, .Lfunc_end31-_ZN7rocprim17ROCPRIM_400000_NS6detail17trampoline_kernelINS0_14default_configENS1_22reduce_config_selectorI18summary_stats_dataIfEEEZNS1_11reduce_implILb1ES3_N6thrust23THRUST_200600_302600_NS11hip_rocprim26transform_input_iterator_tIS6_NSA_6detail15normal_iteratorINSA_10device_ptrIfEEEE22summary_stats_unary_opIfEEEPS6_S6_23summary_stats_binary_opIfEEE10hipError_tPvRmT1_T2_T3_mT4_P12ihipStream_tbEUlT_E1_NS1_11comp_targetILNS1_3genE2ELNS1_11target_archE906ELNS1_3gpuE6ELNS1_3repE0EEENS1_30default_config_static_selectorELNS0_4arch9wavefront6targetE1EEEvSR_
                                        ; -- End function
	.set _ZN7rocprim17ROCPRIM_400000_NS6detail17trampoline_kernelINS0_14default_configENS1_22reduce_config_selectorI18summary_stats_dataIfEEEZNS1_11reduce_implILb1ES3_N6thrust23THRUST_200600_302600_NS11hip_rocprim26transform_input_iterator_tIS6_NSA_6detail15normal_iteratorINSA_10device_ptrIfEEEE22summary_stats_unary_opIfEEEPS6_S6_23summary_stats_binary_opIfEEE10hipError_tPvRmT1_T2_T3_mT4_P12ihipStream_tbEUlT_E1_NS1_11comp_targetILNS1_3genE2ELNS1_11target_archE906ELNS1_3gpuE6ELNS1_3repE0EEENS1_30default_config_static_selectorELNS0_4arch9wavefront6targetE1EEEvSR_.num_vgpr, 38
	.set _ZN7rocprim17ROCPRIM_400000_NS6detail17trampoline_kernelINS0_14default_configENS1_22reduce_config_selectorI18summary_stats_dataIfEEEZNS1_11reduce_implILb1ES3_N6thrust23THRUST_200600_302600_NS11hip_rocprim26transform_input_iterator_tIS6_NSA_6detail15normal_iteratorINSA_10device_ptrIfEEEE22summary_stats_unary_opIfEEEPS6_S6_23summary_stats_binary_opIfEEE10hipError_tPvRmT1_T2_T3_mT4_P12ihipStream_tbEUlT_E1_NS1_11comp_targetILNS1_3genE2ELNS1_11target_archE906ELNS1_3gpuE6ELNS1_3repE0EEENS1_30default_config_static_selectorELNS0_4arch9wavefront6targetE1EEEvSR_.num_agpr, 0
	.set _ZN7rocprim17ROCPRIM_400000_NS6detail17trampoline_kernelINS0_14default_configENS1_22reduce_config_selectorI18summary_stats_dataIfEEEZNS1_11reduce_implILb1ES3_N6thrust23THRUST_200600_302600_NS11hip_rocprim26transform_input_iterator_tIS6_NSA_6detail15normal_iteratorINSA_10device_ptrIfEEEE22summary_stats_unary_opIfEEEPS6_S6_23summary_stats_binary_opIfEEE10hipError_tPvRmT1_T2_T3_mT4_P12ihipStream_tbEUlT_E1_NS1_11comp_targetILNS1_3genE2ELNS1_11target_archE906ELNS1_3gpuE6ELNS1_3repE0EEENS1_30default_config_static_selectorELNS0_4arch9wavefront6targetE1EEEvSR_.numbered_sgpr, 35
	.set _ZN7rocprim17ROCPRIM_400000_NS6detail17trampoline_kernelINS0_14default_configENS1_22reduce_config_selectorI18summary_stats_dataIfEEEZNS1_11reduce_implILb1ES3_N6thrust23THRUST_200600_302600_NS11hip_rocprim26transform_input_iterator_tIS6_NSA_6detail15normal_iteratorINSA_10device_ptrIfEEEE22summary_stats_unary_opIfEEEPS6_S6_23summary_stats_binary_opIfEEE10hipError_tPvRmT1_T2_T3_mT4_P12ihipStream_tbEUlT_E1_NS1_11comp_targetILNS1_3genE2ELNS1_11target_archE906ELNS1_3gpuE6ELNS1_3repE0EEENS1_30default_config_static_selectorELNS0_4arch9wavefront6targetE1EEEvSR_.num_named_barrier, 0
	.set _ZN7rocprim17ROCPRIM_400000_NS6detail17trampoline_kernelINS0_14default_configENS1_22reduce_config_selectorI18summary_stats_dataIfEEEZNS1_11reduce_implILb1ES3_N6thrust23THRUST_200600_302600_NS11hip_rocprim26transform_input_iterator_tIS6_NSA_6detail15normal_iteratorINSA_10device_ptrIfEEEE22summary_stats_unary_opIfEEEPS6_S6_23summary_stats_binary_opIfEEE10hipError_tPvRmT1_T2_T3_mT4_P12ihipStream_tbEUlT_E1_NS1_11comp_targetILNS1_3genE2ELNS1_11target_archE906ELNS1_3gpuE6ELNS1_3repE0EEENS1_30default_config_static_selectorELNS0_4arch9wavefront6targetE1EEEvSR_.private_seg_size, 0
	.set _ZN7rocprim17ROCPRIM_400000_NS6detail17trampoline_kernelINS0_14default_configENS1_22reduce_config_selectorI18summary_stats_dataIfEEEZNS1_11reduce_implILb1ES3_N6thrust23THRUST_200600_302600_NS11hip_rocprim26transform_input_iterator_tIS6_NSA_6detail15normal_iteratorINSA_10device_ptrIfEEEE22summary_stats_unary_opIfEEEPS6_S6_23summary_stats_binary_opIfEEE10hipError_tPvRmT1_T2_T3_mT4_P12ihipStream_tbEUlT_E1_NS1_11comp_targetILNS1_3genE2ELNS1_11target_archE906ELNS1_3gpuE6ELNS1_3repE0EEENS1_30default_config_static_selectorELNS0_4arch9wavefront6targetE1EEEvSR_.uses_vcc, 1
	.set _ZN7rocprim17ROCPRIM_400000_NS6detail17trampoline_kernelINS0_14default_configENS1_22reduce_config_selectorI18summary_stats_dataIfEEEZNS1_11reduce_implILb1ES3_N6thrust23THRUST_200600_302600_NS11hip_rocprim26transform_input_iterator_tIS6_NSA_6detail15normal_iteratorINSA_10device_ptrIfEEEE22summary_stats_unary_opIfEEEPS6_S6_23summary_stats_binary_opIfEEE10hipError_tPvRmT1_T2_T3_mT4_P12ihipStream_tbEUlT_E1_NS1_11comp_targetILNS1_3genE2ELNS1_11target_archE906ELNS1_3gpuE6ELNS1_3repE0EEENS1_30default_config_static_selectorELNS0_4arch9wavefront6targetE1EEEvSR_.uses_flat_scratch, 0
	.set _ZN7rocprim17ROCPRIM_400000_NS6detail17trampoline_kernelINS0_14default_configENS1_22reduce_config_selectorI18summary_stats_dataIfEEEZNS1_11reduce_implILb1ES3_N6thrust23THRUST_200600_302600_NS11hip_rocprim26transform_input_iterator_tIS6_NSA_6detail15normal_iteratorINSA_10device_ptrIfEEEE22summary_stats_unary_opIfEEEPS6_S6_23summary_stats_binary_opIfEEE10hipError_tPvRmT1_T2_T3_mT4_P12ihipStream_tbEUlT_E1_NS1_11comp_targetILNS1_3genE2ELNS1_11target_archE906ELNS1_3gpuE6ELNS1_3repE0EEENS1_30default_config_static_selectorELNS0_4arch9wavefront6targetE1EEEvSR_.has_dyn_sized_stack, 0
	.set _ZN7rocprim17ROCPRIM_400000_NS6detail17trampoline_kernelINS0_14default_configENS1_22reduce_config_selectorI18summary_stats_dataIfEEEZNS1_11reduce_implILb1ES3_N6thrust23THRUST_200600_302600_NS11hip_rocprim26transform_input_iterator_tIS6_NSA_6detail15normal_iteratorINSA_10device_ptrIfEEEE22summary_stats_unary_opIfEEEPS6_S6_23summary_stats_binary_opIfEEE10hipError_tPvRmT1_T2_T3_mT4_P12ihipStream_tbEUlT_E1_NS1_11comp_targetILNS1_3genE2ELNS1_11target_archE906ELNS1_3gpuE6ELNS1_3repE0EEENS1_30default_config_static_selectorELNS0_4arch9wavefront6targetE1EEEvSR_.has_recursion, 0
	.set _ZN7rocprim17ROCPRIM_400000_NS6detail17trampoline_kernelINS0_14default_configENS1_22reduce_config_selectorI18summary_stats_dataIfEEEZNS1_11reduce_implILb1ES3_N6thrust23THRUST_200600_302600_NS11hip_rocprim26transform_input_iterator_tIS6_NSA_6detail15normal_iteratorINSA_10device_ptrIfEEEE22summary_stats_unary_opIfEEEPS6_S6_23summary_stats_binary_opIfEEE10hipError_tPvRmT1_T2_T3_mT4_P12ihipStream_tbEUlT_E1_NS1_11comp_targetILNS1_3genE2ELNS1_11target_archE906ELNS1_3gpuE6ELNS1_3repE0EEENS1_30default_config_static_selectorELNS0_4arch9wavefront6targetE1EEEvSR_.has_indirect_call, 0
	.section	.AMDGPU.csdata,"",@progbits
; Kernel info:
; codeLenInByte = 46640
; TotalNumSgprs: 39
; NumVgprs: 38
; ScratchSize: 0
; MemoryBound: 0
; FloatMode: 240
; IeeeMode: 1
; LDSByteSize: 448 bytes/workgroup (compile time only)
; SGPRBlocks: 4
; VGPRBlocks: 9
; NumSGPRsForWavesPerEU: 39
; NumVGPRsForWavesPerEU: 38
; Occupancy: 6
; WaveLimiterHint : 1
; COMPUTE_PGM_RSRC2:SCRATCH_EN: 0
; COMPUTE_PGM_RSRC2:USER_SGPR: 6
; COMPUTE_PGM_RSRC2:TRAP_HANDLER: 0
; COMPUTE_PGM_RSRC2:TGID_X_EN: 1
; COMPUTE_PGM_RSRC2:TGID_Y_EN: 0
; COMPUTE_PGM_RSRC2:TGID_Z_EN: 0
; COMPUTE_PGM_RSRC2:TIDIG_COMP_CNT: 0
	.section	.text._ZN7rocprim17ROCPRIM_400000_NS6detail17trampoline_kernelINS0_14default_configENS1_22reduce_config_selectorI18summary_stats_dataIfEEEZNS1_11reduce_implILb1ES3_N6thrust23THRUST_200600_302600_NS11hip_rocprim26transform_input_iterator_tIS6_NSA_6detail15normal_iteratorINSA_10device_ptrIfEEEE22summary_stats_unary_opIfEEEPS6_S6_23summary_stats_binary_opIfEEE10hipError_tPvRmT1_T2_T3_mT4_P12ihipStream_tbEUlT_E1_NS1_11comp_targetILNS1_3genE10ELNS1_11target_archE1201ELNS1_3gpuE5ELNS1_3repE0EEENS1_30default_config_static_selectorELNS0_4arch9wavefront6targetE1EEEvSR_,"axG",@progbits,_ZN7rocprim17ROCPRIM_400000_NS6detail17trampoline_kernelINS0_14default_configENS1_22reduce_config_selectorI18summary_stats_dataIfEEEZNS1_11reduce_implILb1ES3_N6thrust23THRUST_200600_302600_NS11hip_rocprim26transform_input_iterator_tIS6_NSA_6detail15normal_iteratorINSA_10device_ptrIfEEEE22summary_stats_unary_opIfEEEPS6_S6_23summary_stats_binary_opIfEEE10hipError_tPvRmT1_T2_T3_mT4_P12ihipStream_tbEUlT_E1_NS1_11comp_targetILNS1_3genE10ELNS1_11target_archE1201ELNS1_3gpuE5ELNS1_3repE0EEENS1_30default_config_static_selectorELNS0_4arch9wavefront6targetE1EEEvSR_,comdat
	.protected	_ZN7rocprim17ROCPRIM_400000_NS6detail17trampoline_kernelINS0_14default_configENS1_22reduce_config_selectorI18summary_stats_dataIfEEEZNS1_11reduce_implILb1ES3_N6thrust23THRUST_200600_302600_NS11hip_rocprim26transform_input_iterator_tIS6_NSA_6detail15normal_iteratorINSA_10device_ptrIfEEEE22summary_stats_unary_opIfEEEPS6_S6_23summary_stats_binary_opIfEEE10hipError_tPvRmT1_T2_T3_mT4_P12ihipStream_tbEUlT_E1_NS1_11comp_targetILNS1_3genE10ELNS1_11target_archE1201ELNS1_3gpuE5ELNS1_3repE0EEENS1_30default_config_static_selectorELNS0_4arch9wavefront6targetE1EEEvSR_ ; -- Begin function _ZN7rocprim17ROCPRIM_400000_NS6detail17trampoline_kernelINS0_14default_configENS1_22reduce_config_selectorI18summary_stats_dataIfEEEZNS1_11reduce_implILb1ES3_N6thrust23THRUST_200600_302600_NS11hip_rocprim26transform_input_iterator_tIS6_NSA_6detail15normal_iteratorINSA_10device_ptrIfEEEE22summary_stats_unary_opIfEEEPS6_S6_23summary_stats_binary_opIfEEE10hipError_tPvRmT1_T2_T3_mT4_P12ihipStream_tbEUlT_E1_NS1_11comp_targetILNS1_3genE10ELNS1_11target_archE1201ELNS1_3gpuE5ELNS1_3repE0EEENS1_30default_config_static_selectorELNS0_4arch9wavefront6targetE1EEEvSR_
	.globl	_ZN7rocprim17ROCPRIM_400000_NS6detail17trampoline_kernelINS0_14default_configENS1_22reduce_config_selectorI18summary_stats_dataIfEEEZNS1_11reduce_implILb1ES3_N6thrust23THRUST_200600_302600_NS11hip_rocprim26transform_input_iterator_tIS6_NSA_6detail15normal_iteratorINSA_10device_ptrIfEEEE22summary_stats_unary_opIfEEEPS6_S6_23summary_stats_binary_opIfEEE10hipError_tPvRmT1_T2_T3_mT4_P12ihipStream_tbEUlT_E1_NS1_11comp_targetILNS1_3genE10ELNS1_11target_archE1201ELNS1_3gpuE5ELNS1_3repE0EEENS1_30default_config_static_selectorELNS0_4arch9wavefront6targetE1EEEvSR_
	.p2align	8
	.type	_ZN7rocprim17ROCPRIM_400000_NS6detail17trampoline_kernelINS0_14default_configENS1_22reduce_config_selectorI18summary_stats_dataIfEEEZNS1_11reduce_implILb1ES3_N6thrust23THRUST_200600_302600_NS11hip_rocprim26transform_input_iterator_tIS6_NSA_6detail15normal_iteratorINSA_10device_ptrIfEEEE22summary_stats_unary_opIfEEEPS6_S6_23summary_stats_binary_opIfEEE10hipError_tPvRmT1_T2_T3_mT4_P12ihipStream_tbEUlT_E1_NS1_11comp_targetILNS1_3genE10ELNS1_11target_archE1201ELNS1_3gpuE5ELNS1_3repE0EEENS1_30default_config_static_selectorELNS0_4arch9wavefront6targetE1EEEvSR_,@function
_ZN7rocprim17ROCPRIM_400000_NS6detail17trampoline_kernelINS0_14default_configENS1_22reduce_config_selectorI18summary_stats_dataIfEEEZNS1_11reduce_implILb1ES3_N6thrust23THRUST_200600_302600_NS11hip_rocprim26transform_input_iterator_tIS6_NSA_6detail15normal_iteratorINSA_10device_ptrIfEEEE22summary_stats_unary_opIfEEEPS6_S6_23summary_stats_binary_opIfEEE10hipError_tPvRmT1_T2_T3_mT4_P12ihipStream_tbEUlT_E1_NS1_11comp_targetILNS1_3genE10ELNS1_11target_archE1201ELNS1_3gpuE5ELNS1_3repE0EEENS1_30default_config_static_selectorELNS0_4arch9wavefront6targetE1EEEvSR_: ; @_ZN7rocprim17ROCPRIM_400000_NS6detail17trampoline_kernelINS0_14default_configENS1_22reduce_config_selectorI18summary_stats_dataIfEEEZNS1_11reduce_implILb1ES3_N6thrust23THRUST_200600_302600_NS11hip_rocprim26transform_input_iterator_tIS6_NSA_6detail15normal_iteratorINSA_10device_ptrIfEEEE22summary_stats_unary_opIfEEEPS6_S6_23summary_stats_binary_opIfEEE10hipError_tPvRmT1_T2_T3_mT4_P12ihipStream_tbEUlT_E1_NS1_11comp_targetILNS1_3genE10ELNS1_11target_archE1201ELNS1_3gpuE5ELNS1_3repE0EEENS1_30default_config_static_selectorELNS0_4arch9wavefront6targetE1EEEvSR_
; %bb.0:
	.section	.rodata,"a",@progbits
	.p2align	6, 0x0
	.amdhsa_kernel _ZN7rocprim17ROCPRIM_400000_NS6detail17trampoline_kernelINS0_14default_configENS1_22reduce_config_selectorI18summary_stats_dataIfEEEZNS1_11reduce_implILb1ES3_N6thrust23THRUST_200600_302600_NS11hip_rocprim26transform_input_iterator_tIS6_NSA_6detail15normal_iteratorINSA_10device_ptrIfEEEE22summary_stats_unary_opIfEEEPS6_S6_23summary_stats_binary_opIfEEE10hipError_tPvRmT1_T2_T3_mT4_P12ihipStream_tbEUlT_E1_NS1_11comp_targetILNS1_3genE10ELNS1_11target_archE1201ELNS1_3gpuE5ELNS1_3repE0EEENS1_30default_config_static_selectorELNS0_4arch9wavefront6targetE1EEEvSR_
		.amdhsa_group_segment_fixed_size 0
		.amdhsa_private_segment_fixed_size 0
		.amdhsa_kernarg_size 72
		.amdhsa_user_sgpr_count 6
		.amdhsa_user_sgpr_private_segment_buffer 1
		.amdhsa_user_sgpr_dispatch_ptr 0
		.amdhsa_user_sgpr_queue_ptr 0
		.amdhsa_user_sgpr_kernarg_segment_ptr 1
		.amdhsa_user_sgpr_dispatch_id 0
		.amdhsa_user_sgpr_flat_scratch_init 0
		.amdhsa_user_sgpr_private_segment_size 0
		.amdhsa_uses_dynamic_stack 0
		.amdhsa_system_sgpr_private_segment_wavefront_offset 0
		.amdhsa_system_sgpr_workgroup_id_x 1
		.amdhsa_system_sgpr_workgroup_id_y 0
		.amdhsa_system_sgpr_workgroup_id_z 0
		.amdhsa_system_sgpr_workgroup_info 0
		.amdhsa_system_vgpr_workitem_id 0
		.amdhsa_next_free_vgpr 1
		.amdhsa_next_free_sgpr 0
		.amdhsa_reserve_vcc 0
		.amdhsa_reserve_flat_scratch 0
		.amdhsa_float_round_mode_32 0
		.amdhsa_float_round_mode_16_64 0
		.amdhsa_float_denorm_mode_32 3
		.amdhsa_float_denorm_mode_16_64 3
		.amdhsa_dx10_clamp 1
		.amdhsa_ieee_mode 1
		.amdhsa_fp16_overflow 0
		.amdhsa_exception_fp_ieee_invalid_op 0
		.amdhsa_exception_fp_denorm_src 0
		.amdhsa_exception_fp_ieee_div_zero 0
		.amdhsa_exception_fp_ieee_overflow 0
		.amdhsa_exception_fp_ieee_underflow 0
		.amdhsa_exception_fp_ieee_inexact 0
		.amdhsa_exception_int_div_zero 0
	.end_amdhsa_kernel
	.section	.text._ZN7rocprim17ROCPRIM_400000_NS6detail17trampoline_kernelINS0_14default_configENS1_22reduce_config_selectorI18summary_stats_dataIfEEEZNS1_11reduce_implILb1ES3_N6thrust23THRUST_200600_302600_NS11hip_rocprim26transform_input_iterator_tIS6_NSA_6detail15normal_iteratorINSA_10device_ptrIfEEEE22summary_stats_unary_opIfEEEPS6_S6_23summary_stats_binary_opIfEEE10hipError_tPvRmT1_T2_T3_mT4_P12ihipStream_tbEUlT_E1_NS1_11comp_targetILNS1_3genE10ELNS1_11target_archE1201ELNS1_3gpuE5ELNS1_3repE0EEENS1_30default_config_static_selectorELNS0_4arch9wavefront6targetE1EEEvSR_,"axG",@progbits,_ZN7rocprim17ROCPRIM_400000_NS6detail17trampoline_kernelINS0_14default_configENS1_22reduce_config_selectorI18summary_stats_dataIfEEEZNS1_11reduce_implILb1ES3_N6thrust23THRUST_200600_302600_NS11hip_rocprim26transform_input_iterator_tIS6_NSA_6detail15normal_iteratorINSA_10device_ptrIfEEEE22summary_stats_unary_opIfEEEPS6_S6_23summary_stats_binary_opIfEEE10hipError_tPvRmT1_T2_T3_mT4_P12ihipStream_tbEUlT_E1_NS1_11comp_targetILNS1_3genE10ELNS1_11target_archE1201ELNS1_3gpuE5ELNS1_3repE0EEENS1_30default_config_static_selectorELNS0_4arch9wavefront6targetE1EEEvSR_,comdat
.Lfunc_end32:
	.size	_ZN7rocprim17ROCPRIM_400000_NS6detail17trampoline_kernelINS0_14default_configENS1_22reduce_config_selectorI18summary_stats_dataIfEEEZNS1_11reduce_implILb1ES3_N6thrust23THRUST_200600_302600_NS11hip_rocprim26transform_input_iterator_tIS6_NSA_6detail15normal_iteratorINSA_10device_ptrIfEEEE22summary_stats_unary_opIfEEEPS6_S6_23summary_stats_binary_opIfEEE10hipError_tPvRmT1_T2_T3_mT4_P12ihipStream_tbEUlT_E1_NS1_11comp_targetILNS1_3genE10ELNS1_11target_archE1201ELNS1_3gpuE5ELNS1_3repE0EEENS1_30default_config_static_selectorELNS0_4arch9wavefront6targetE1EEEvSR_, .Lfunc_end32-_ZN7rocprim17ROCPRIM_400000_NS6detail17trampoline_kernelINS0_14default_configENS1_22reduce_config_selectorI18summary_stats_dataIfEEEZNS1_11reduce_implILb1ES3_N6thrust23THRUST_200600_302600_NS11hip_rocprim26transform_input_iterator_tIS6_NSA_6detail15normal_iteratorINSA_10device_ptrIfEEEE22summary_stats_unary_opIfEEEPS6_S6_23summary_stats_binary_opIfEEE10hipError_tPvRmT1_T2_T3_mT4_P12ihipStream_tbEUlT_E1_NS1_11comp_targetILNS1_3genE10ELNS1_11target_archE1201ELNS1_3gpuE5ELNS1_3repE0EEENS1_30default_config_static_selectorELNS0_4arch9wavefront6targetE1EEEvSR_
                                        ; -- End function
	.set _ZN7rocprim17ROCPRIM_400000_NS6detail17trampoline_kernelINS0_14default_configENS1_22reduce_config_selectorI18summary_stats_dataIfEEEZNS1_11reduce_implILb1ES3_N6thrust23THRUST_200600_302600_NS11hip_rocprim26transform_input_iterator_tIS6_NSA_6detail15normal_iteratorINSA_10device_ptrIfEEEE22summary_stats_unary_opIfEEEPS6_S6_23summary_stats_binary_opIfEEE10hipError_tPvRmT1_T2_T3_mT4_P12ihipStream_tbEUlT_E1_NS1_11comp_targetILNS1_3genE10ELNS1_11target_archE1201ELNS1_3gpuE5ELNS1_3repE0EEENS1_30default_config_static_selectorELNS0_4arch9wavefront6targetE1EEEvSR_.num_vgpr, 0
	.set _ZN7rocprim17ROCPRIM_400000_NS6detail17trampoline_kernelINS0_14default_configENS1_22reduce_config_selectorI18summary_stats_dataIfEEEZNS1_11reduce_implILb1ES3_N6thrust23THRUST_200600_302600_NS11hip_rocprim26transform_input_iterator_tIS6_NSA_6detail15normal_iteratorINSA_10device_ptrIfEEEE22summary_stats_unary_opIfEEEPS6_S6_23summary_stats_binary_opIfEEE10hipError_tPvRmT1_T2_T3_mT4_P12ihipStream_tbEUlT_E1_NS1_11comp_targetILNS1_3genE10ELNS1_11target_archE1201ELNS1_3gpuE5ELNS1_3repE0EEENS1_30default_config_static_selectorELNS0_4arch9wavefront6targetE1EEEvSR_.num_agpr, 0
	.set _ZN7rocprim17ROCPRIM_400000_NS6detail17trampoline_kernelINS0_14default_configENS1_22reduce_config_selectorI18summary_stats_dataIfEEEZNS1_11reduce_implILb1ES3_N6thrust23THRUST_200600_302600_NS11hip_rocprim26transform_input_iterator_tIS6_NSA_6detail15normal_iteratorINSA_10device_ptrIfEEEE22summary_stats_unary_opIfEEEPS6_S6_23summary_stats_binary_opIfEEE10hipError_tPvRmT1_T2_T3_mT4_P12ihipStream_tbEUlT_E1_NS1_11comp_targetILNS1_3genE10ELNS1_11target_archE1201ELNS1_3gpuE5ELNS1_3repE0EEENS1_30default_config_static_selectorELNS0_4arch9wavefront6targetE1EEEvSR_.numbered_sgpr, 0
	.set _ZN7rocprim17ROCPRIM_400000_NS6detail17trampoline_kernelINS0_14default_configENS1_22reduce_config_selectorI18summary_stats_dataIfEEEZNS1_11reduce_implILb1ES3_N6thrust23THRUST_200600_302600_NS11hip_rocprim26transform_input_iterator_tIS6_NSA_6detail15normal_iteratorINSA_10device_ptrIfEEEE22summary_stats_unary_opIfEEEPS6_S6_23summary_stats_binary_opIfEEE10hipError_tPvRmT1_T2_T3_mT4_P12ihipStream_tbEUlT_E1_NS1_11comp_targetILNS1_3genE10ELNS1_11target_archE1201ELNS1_3gpuE5ELNS1_3repE0EEENS1_30default_config_static_selectorELNS0_4arch9wavefront6targetE1EEEvSR_.num_named_barrier, 0
	.set _ZN7rocprim17ROCPRIM_400000_NS6detail17trampoline_kernelINS0_14default_configENS1_22reduce_config_selectorI18summary_stats_dataIfEEEZNS1_11reduce_implILb1ES3_N6thrust23THRUST_200600_302600_NS11hip_rocprim26transform_input_iterator_tIS6_NSA_6detail15normal_iteratorINSA_10device_ptrIfEEEE22summary_stats_unary_opIfEEEPS6_S6_23summary_stats_binary_opIfEEE10hipError_tPvRmT1_T2_T3_mT4_P12ihipStream_tbEUlT_E1_NS1_11comp_targetILNS1_3genE10ELNS1_11target_archE1201ELNS1_3gpuE5ELNS1_3repE0EEENS1_30default_config_static_selectorELNS0_4arch9wavefront6targetE1EEEvSR_.private_seg_size, 0
	.set _ZN7rocprim17ROCPRIM_400000_NS6detail17trampoline_kernelINS0_14default_configENS1_22reduce_config_selectorI18summary_stats_dataIfEEEZNS1_11reduce_implILb1ES3_N6thrust23THRUST_200600_302600_NS11hip_rocprim26transform_input_iterator_tIS6_NSA_6detail15normal_iteratorINSA_10device_ptrIfEEEE22summary_stats_unary_opIfEEEPS6_S6_23summary_stats_binary_opIfEEE10hipError_tPvRmT1_T2_T3_mT4_P12ihipStream_tbEUlT_E1_NS1_11comp_targetILNS1_3genE10ELNS1_11target_archE1201ELNS1_3gpuE5ELNS1_3repE0EEENS1_30default_config_static_selectorELNS0_4arch9wavefront6targetE1EEEvSR_.uses_vcc, 0
	.set _ZN7rocprim17ROCPRIM_400000_NS6detail17trampoline_kernelINS0_14default_configENS1_22reduce_config_selectorI18summary_stats_dataIfEEEZNS1_11reduce_implILb1ES3_N6thrust23THRUST_200600_302600_NS11hip_rocprim26transform_input_iterator_tIS6_NSA_6detail15normal_iteratorINSA_10device_ptrIfEEEE22summary_stats_unary_opIfEEEPS6_S6_23summary_stats_binary_opIfEEE10hipError_tPvRmT1_T2_T3_mT4_P12ihipStream_tbEUlT_E1_NS1_11comp_targetILNS1_3genE10ELNS1_11target_archE1201ELNS1_3gpuE5ELNS1_3repE0EEENS1_30default_config_static_selectorELNS0_4arch9wavefront6targetE1EEEvSR_.uses_flat_scratch, 0
	.set _ZN7rocprim17ROCPRIM_400000_NS6detail17trampoline_kernelINS0_14default_configENS1_22reduce_config_selectorI18summary_stats_dataIfEEEZNS1_11reduce_implILb1ES3_N6thrust23THRUST_200600_302600_NS11hip_rocprim26transform_input_iterator_tIS6_NSA_6detail15normal_iteratorINSA_10device_ptrIfEEEE22summary_stats_unary_opIfEEEPS6_S6_23summary_stats_binary_opIfEEE10hipError_tPvRmT1_T2_T3_mT4_P12ihipStream_tbEUlT_E1_NS1_11comp_targetILNS1_3genE10ELNS1_11target_archE1201ELNS1_3gpuE5ELNS1_3repE0EEENS1_30default_config_static_selectorELNS0_4arch9wavefront6targetE1EEEvSR_.has_dyn_sized_stack, 0
	.set _ZN7rocprim17ROCPRIM_400000_NS6detail17trampoline_kernelINS0_14default_configENS1_22reduce_config_selectorI18summary_stats_dataIfEEEZNS1_11reduce_implILb1ES3_N6thrust23THRUST_200600_302600_NS11hip_rocprim26transform_input_iterator_tIS6_NSA_6detail15normal_iteratorINSA_10device_ptrIfEEEE22summary_stats_unary_opIfEEEPS6_S6_23summary_stats_binary_opIfEEE10hipError_tPvRmT1_T2_T3_mT4_P12ihipStream_tbEUlT_E1_NS1_11comp_targetILNS1_3genE10ELNS1_11target_archE1201ELNS1_3gpuE5ELNS1_3repE0EEENS1_30default_config_static_selectorELNS0_4arch9wavefront6targetE1EEEvSR_.has_recursion, 0
	.set _ZN7rocprim17ROCPRIM_400000_NS6detail17trampoline_kernelINS0_14default_configENS1_22reduce_config_selectorI18summary_stats_dataIfEEEZNS1_11reduce_implILb1ES3_N6thrust23THRUST_200600_302600_NS11hip_rocprim26transform_input_iterator_tIS6_NSA_6detail15normal_iteratorINSA_10device_ptrIfEEEE22summary_stats_unary_opIfEEEPS6_S6_23summary_stats_binary_opIfEEE10hipError_tPvRmT1_T2_T3_mT4_P12ihipStream_tbEUlT_E1_NS1_11comp_targetILNS1_3genE10ELNS1_11target_archE1201ELNS1_3gpuE5ELNS1_3repE0EEENS1_30default_config_static_selectorELNS0_4arch9wavefront6targetE1EEEvSR_.has_indirect_call, 0
	.section	.AMDGPU.csdata,"",@progbits
; Kernel info:
; codeLenInByte = 0
; TotalNumSgprs: 4
; NumVgprs: 0
; ScratchSize: 0
; MemoryBound: 0
; FloatMode: 240
; IeeeMode: 1
; LDSByteSize: 0 bytes/workgroup (compile time only)
; SGPRBlocks: 0
; VGPRBlocks: 0
; NumSGPRsForWavesPerEU: 4
; NumVGPRsForWavesPerEU: 1
; Occupancy: 10
; WaveLimiterHint : 0
; COMPUTE_PGM_RSRC2:SCRATCH_EN: 0
; COMPUTE_PGM_RSRC2:USER_SGPR: 6
; COMPUTE_PGM_RSRC2:TRAP_HANDLER: 0
; COMPUTE_PGM_RSRC2:TGID_X_EN: 1
; COMPUTE_PGM_RSRC2:TGID_Y_EN: 0
; COMPUTE_PGM_RSRC2:TGID_Z_EN: 0
; COMPUTE_PGM_RSRC2:TIDIG_COMP_CNT: 0
	.section	.text._ZN7rocprim17ROCPRIM_400000_NS6detail17trampoline_kernelINS0_14default_configENS1_22reduce_config_selectorI18summary_stats_dataIfEEEZNS1_11reduce_implILb1ES3_N6thrust23THRUST_200600_302600_NS11hip_rocprim26transform_input_iterator_tIS6_NSA_6detail15normal_iteratorINSA_10device_ptrIfEEEE22summary_stats_unary_opIfEEEPS6_S6_23summary_stats_binary_opIfEEE10hipError_tPvRmT1_T2_T3_mT4_P12ihipStream_tbEUlT_E1_NS1_11comp_targetILNS1_3genE10ELNS1_11target_archE1200ELNS1_3gpuE4ELNS1_3repE0EEENS1_30default_config_static_selectorELNS0_4arch9wavefront6targetE1EEEvSR_,"axG",@progbits,_ZN7rocprim17ROCPRIM_400000_NS6detail17trampoline_kernelINS0_14default_configENS1_22reduce_config_selectorI18summary_stats_dataIfEEEZNS1_11reduce_implILb1ES3_N6thrust23THRUST_200600_302600_NS11hip_rocprim26transform_input_iterator_tIS6_NSA_6detail15normal_iteratorINSA_10device_ptrIfEEEE22summary_stats_unary_opIfEEEPS6_S6_23summary_stats_binary_opIfEEE10hipError_tPvRmT1_T2_T3_mT4_P12ihipStream_tbEUlT_E1_NS1_11comp_targetILNS1_3genE10ELNS1_11target_archE1200ELNS1_3gpuE4ELNS1_3repE0EEENS1_30default_config_static_selectorELNS0_4arch9wavefront6targetE1EEEvSR_,comdat
	.protected	_ZN7rocprim17ROCPRIM_400000_NS6detail17trampoline_kernelINS0_14default_configENS1_22reduce_config_selectorI18summary_stats_dataIfEEEZNS1_11reduce_implILb1ES3_N6thrust23THRUST_200600_302600_NS11hip_rocprim26transform_input_iterator_tIS6_NSA_6detail15normal_iteratorINSA_10device_ptrIfEEEE22summary_stats_unary_opIfEEEPS6_S6_23summary_stats_binary_opIfEEE10hipError_tPvRmT1_T2_T3_mT4_P12ihipStream_tbEUlT_E1_NS1_11comp_targetILNS1_3genE10ELNS1_11target_archE1200ELNS1_3gpuE4ELNS1_3repE0EEENS1_30default_config_static_selectorELNS0_4arch9wavefront6targetE1EEEvSR_ ; -- Begin function _ZN7rocprim17ROCPRIM_400000_NS6detail17trampoline_kernelINS0_14default_configENS1_22reduce_config_selectorI18summary_stats_dataIfEEEZNS1_11reduce_implILb1ES3_N6thrust23THRUST_200600_302600_NS11hip_rocprim26transform_input_iterator_tIS6_NSA_6detail15normal_iteratorINSA_10device_ptrIfEEEE22summary_stats_unary_opIfEEEPS6_S6_23summary_stats_binary_opIfEEE10hipError_tPvRmT1_T2_T3_mT4_P12ihipStream_tbEUlT_E1_NS1_11comp_targetILNS1_3genE10ELNS1_11target_archE1200ELNS1_3gpuE4ELNS1_3repE0EEENS1_30default_config_static_selectorELNS0_4arch9wavefront6targetE1EEEvSR_
	.globl	_ZN7rocprim17ROCPRIM_400000_NS6detail17trampoline_kernelINS0_14default_configENS1_22reduce_config_selectorI18summary_stats_dataIfEEEZNS1_11reduce_implILb1ES3_N6thrust23THRUST_200600_302600_NS11hip_rocprim26transform_input_iterator_tIS6_NSA_6detail15normal_iteratorINSA_10device_ptrIfEEEE22summary_stats_unary_opIfEEEPS6_S6_23summary_stats_binary_opIfEEE10hipError_tPvRmT1_T2_T3_mT4_P12ihipStream_tbEUlT_E1_NS1_11comp_targetILNS1_3genE10ELNS1_11target_archE1200ELNS1_3gpuE4ELNS1_3repE0EEENS1_30default_config_static_selectorELNS0_4arch9wavefront6targetE1EEEvSR_
	.p2align	8
	.type	_ZN7rocprim17ROCPRIM_400000_NS6detail17trampoline_kernelINS0_14default_configENS1_22reduce_config_selectorI18summary_stats_dataIfEEEZNS1_11reduce_implILb1ES3_N6thrust23THRUST_200600_302600_NS11hip_rocprim26transform_input_iterator_tIS6_NSA_6detail15normal_iteratorINSA_10device_ptrIfEEEE22summary_stats_unary_opIfEEEPS6_S6_23summary_stats_binary_opIfEEE10hipError_tPvRmT1_T2_T3_mT4_P12ihipStream_tbEUlT_E1_NS1_11comp_targetILNS1_3genE10ELNS1_11target_archE1200ELNS1_3gpuE4ELNS1_3repE0EEENS1_30default_config_static_selectorELNS0_4arch9wavefront6targetE1EEEvSR_,@function
_ZN7rocprim17ROCPRIM_400000_NS6detail17trampoline_kernelINS0_14default_configENS1_22reduce_config_selectorI18summary_stats_dataIfEEEZNS1_11reduce_implILb1ES3_N6thrust23THRUST_200600_302600_NS11hip_rocprim26transform_input_iterator_tIS6_NSA_6detail15normal_iteratorINSA_10device_ptrIfEEEE22summary_stats_unary_opIfEEEPS6_S6_23summary_stats_binary_opIfEEE10hipError_tPvRmT1_T2_T3_mT4_P12ihipStream_tbEUlT_E1_NS1_11comp_targetILNS1_3genE10ELNS1_11target_archE1200ELNS1_3gpuE4ELNS1_3repE0EEENS1_30default_config_static_selectorELNS0_4arch9wavefront6targetE1EEEvSR_: ; @_ZN7rocprim17ROCPRIM_400000_NS6detail17trampoline_kernelINS0_14default_configENS1_22reduce_config_selectorI18summary_stats_dataIfEEEZNS1_11reduce_implILb1ES3_N6thrust23THRUST_200600_302600_NS11hip_rocprim26transform_input_iterator_tIS6_NSA_6detail15normal_iteratorINSA_10device_ptrIfEEEE22summary_stats_unary_opIfEEEPS6_S6_23summary_stats_binary_opIfEEE10hipError_tPvRmT1_T2_T3_mT4_P12ihipStream_tbEUlT_E1_NS1_11comp_targetILNS1_3genE10ELNS1_11target_archE1200ELNS1_3gpuE4ELNS1_3repE0EEENS1_30default_config_static_selectorELNS0_4arch9wavefront6targetE1EEEvSR_
; %bb.0:
	.section	.rodata,"a",@progbits
	.p2align	6, 0x0
	.amdhsa_kernel _ZN7rocprim17ROCPRIM_400000_NS6detail17trampoline_kernelINS0_14default_configENS1_22reduce_config_selectorI18summary_stats_dataIfEEEZNS1_11reduce_implILb1ES3_N6thrust23THRUST_200600_302600_NS11hip_rocprim26transform_input_iterator_tIS6_NSA_6detail15normal_iteratorINSA_10device_ptrIfEEEE22summary_stats_unary_opIfEEEPS6_S6_23summary_stats_binary_opIfEEE10hipError_tPvRmT1_T2_T3_mT4_P12ihipStream_tbEUlT_E1_NS1_11comp_targetILNS1_3genE10ELNS1_11target_archE1200ELNS1_3gpuE4ELNS1_3repE0EEENS1_30default_config_static_selectorELNS0_4arch9wavefront6targetE1EEEvSR_
		.amdhsa_group_segment_fixed_size 0
		.amdhsa_private_segment_fixed_size 0
		.amdhsa_kernarg_size 72
		.amdhsa_user_sgpr_count 6
		.amdhsa_user_sgpr_private_segment_buffer 1
		.amdhsa_user_sgpr_dispatch_ptr 0
		.amdhsa_user_sgpr_queue_ptr 0
		.amdhsa_user_sgpr_kernarg_segment_ptr 1
		.amdhsa_user_sgpr_dispatch_id 0
		.amdhsa_user_sgpr_flat_scratch_init 0
		.amdhsa_user_sgpr_private_segment_size 0
		.amdhsa_uses_dynamic_stack 0
		.amdhsa_system_sgpr_private_segment_wavefront_offset 0
		.amdhsa_system_sgpr_workgroup_id_x 1
		.amdhsa_system_sgpr_workgroup_id_y 0
		.amdhsa_system_sgpr_workgroup_id_z 0
		.amdhsa_system_sgpr_workgroup_info 0
		.amdhsa_system_vgpr_workitem_id 0
		.amdhsa_next_free_vgpr 1
		.amdhsa_next_free_sgpr 0
		.amdhsa_reserve_vcc 0
		.amdhsa_reserve_flat_scratch 0
		.amdhsa_float_round_mode_32 0
		.amdhsa_float_round_mode_16_64 0
		.amdhsa_float_denorm_mode_32 3
		.amdhsa_float_denorm_mode_16_64 3
		.amdhsa_dx10_clamp 1
		.amdhsa_ieee_mode 1
		.amdhsa_fp16_overflow 0
		.amdhsa_exception_fp_ieee_invalid_op 0
		.amdhsa_exception_fp_denorm_src 0
		.amdhsa_exception_fp_ieee_div_zero 0
		.amdhsa_exception_fp_ieee_overflow 0
		.amdhsa_exception_fp_ieee_underflow 0
		.amdhsa_exception_fp_ieee_inexact 0
		.amdhsa_exception_int_div_zero 0
	.end_amdhsa_kernel
	.section	.text._ZN7rocprim17ROCPRIM_400000_NS6detail17trampoline_kernelINS0_14default_configENS1_22reduce_config_selectorI18summary_stats_dataIfEEEZNS1_11reduce_implILb1ES3_N6thrust23THRUST_200600_302600_NS11hip_rocprim26transform_input_iterator_tIS6_NSA_6detail15normal_iteratorINSA_10device_ptrIfEEEE22summary_stats_unary_opIfEEEPS6_S6_23summary_stats_binary_opIfEEE10hipError_tPvRmT1_T2_T3_mT4_P12ihipStream_tbEUlT_E1_NS1_11comp_targetILNS1_3genE10ELNS1_11target_archE1200ELNS1_3gpuE4ELNS1_3repE0EEENS1_30default_config_static_selectorELNS0_4arch9wavefront6targetE1EEEvSR_,"axG",@progbits,_ZN7rocprim17ROCPRIM_400000_NS6detail17trampoline_kernelINS0_14default_configENS1_22reduce_config_selectorI18summary_stats_dataIfEEEZNS1_11reduce_implILb1ES3_N6thrust23THRUST_200600_302600_NS11hip_rocprim26transform_input_iterator_tIS6_NSA_6detail15normal_iteratorINSA_10device_ptrIfEEEE22summary_stats_unary_opIfEEEPS6_S6_23summary_stats_binary_opIfEEE10hipError_tPvRmT1_T2_T3_mT4_P12ihipStream_tbEUlT_E1_NS1_11comp_targetILNS1_3genE10ELNS1_11target_archE1200ELNS1_3gpuE4ELNS1_3repE0EEENS1_30default_config_static_selectorELNS0_4arch9wavefront6targetE1EEEvSR_,comdat
.Lfunc_end33:
	.size	_ZN7rocprim17ROCPRIM_400000_NS6detail17trampoline_kernelINS0_14default_configENS1_22reduce_config_selectorI18summary_stats_dataIfEEEZNS1_11reduce_implILb1ES3_N6thrust23THRUST_200600_302600_NS11hip_rocprim26transform_input_iterator_tIS6_NSA_6detail15normal_iteratorINSA_10device_ptrIfEEEE22summary_stats_unary_opIfEEEPS6_S6_23summary_stats_binary_opIfEEE10hipError_tPvRmT1_T2_T3_mT4_P12ihipStream_tbEUlT_E1_NS1_11comp_targetILNS1_3genE10ELNS1_11target_archE1200ELNS1_3gpuE4ELNS1_3repE0EEENS1_30default_config_static_selectorELNS0_4arch9wavefront6targetE1EEEvSR_, .Lfunc_end33-_ZN7rocprim17ROCPRIM_400000_NS6detail17trampoline_kernelINS0_14default_configENS1_22reduce_config_selectorI18summary_stats_dataIfEEEZNS1_11reduce_implILb1ES3_N6thrust23THRUST_200600_302600_NS11hip_rocprim26transform_input_iterator_tIS6_NSA_6detail15normal_iteratorINSA_10device_ptrIfEEEE22summary_stats_unary_opIfEEEPS6_S6_23summary_stats_binary_opIfEEE10hipError_tPvRmT1_T2_T3_mT4_P12ihipStream_tbEUlT_E1_NS1_11comp_targetILNS1_3genE10ELNS1_11target_archE1200ELNS1_3gpuE4ELNS1_3repE0EEENS1_30default_config_static_selectorELNS0_4arch9wavefront6targetE1EEEvSR_
                                        ; -- End function
	.set _ZN7rocprim17ROCPRIM_400000_NS6detail17trampoline_kernelINS0_14default_configENS1_22reduce_config_selectorI18summary_stats_dataIfEEEZNS1_11reduce_implILb1ES3_N6thrust23THRUST_200600_302600_NS11hip_rocprim26transform_input_iterator_tIS6_NSA_6detail15normal_iteratorINSA_10device_ptrIfEEEE22summary_stats_unary_opIfEEEPS6_S6_23summary_stats_binary_opIfEEE10hipError_tPvRmT1_T2_T3_mT4_P12ihipStream_tbEUlT_E1_NS1_11comp_targetILNS1_3genE10ELNS1_11target_archE1200ELNS1_3gpuE4ELNS1_3repE0EEENS1_30default_config_static_selectorELNS0_4arch9wavefront6targetE1EEEvSR_.num_vgpr, 0
	.set _ZN7rocprim17ROCPRIM_400000_NS6detail17trampoline_kernelINS0_14default_configENS1_22reduce_config_selectorI18summary_stats_dataIfEEEZNS1_11reduce_implILb1ES3_N6thrust23THRUST_200600_302600_NS11hip_rocprim26transform_input_iterator_tIS6_NSA_6detail15normal_iteratorINSA_10device_ptrIfEEEE22summary_stats_unary_opIfEEEPS6_S6_23summary_stats_binary_opIfEEE10hipError_tPvRmT1_T2_T3_mT4_P12ihipStream_tbEUlT_E1_NS1_11comp_targetILNS1_3genE10ELNS1_11target_archE1200ELNS1_3gpuE4ELNS1_3repE0EEENS1_30default_config_static_selectorELNS0_4arch9wavefront6targetE1EEEvSR_.num_agpr, 0
	.set _ZN7rocprim17ROCPRIM_400000_NS6detail17trampoline_kernelINS0_14default_configENS1_22reduce_config_selectorI18summary_stats_dataIfEEEZNS1_11reduce_implILb1ES3_N6thrust23THRUST_200600_302600_NS11hip_rocprim26transform_input_iterator_tIS6_NSA_6detail15normal_iteratorINSA_10device_ptrIfEEEE22summary_stats_unary_opIfEEEPS6_S6_23summary_stats_binary_opIfEEE10hipError_tPvRmT1_T2_T3_mT4_P12ihipStream_tbEUlT_E1_NS1_11comp_targetILNS1_3genE10ELNS1_11target_archE1200ELNS1_3gpuE4ELNS1_3repE0EEENS1_30default_config_static_selectorELNS0_4arch9wavefront6targetE1EEEvSR_.numbered_sgpr, 0
	.set _ZN7rocprim17ROCPRIM_400000_NS6detail17trampoline_kernelINS0_14default_configENS1_22reduce_config_selectorI18summary_stats_dataIfEEEZNS1_11reduce_implILb1ES3_N6thrust23THRUST_200600_302600_NS11hip_rocprim26transform_input_iterator_tIS6_NSA_6detail15normal_iteratorINSA_10device_ptrIfEEEE22summary_stats_unary_opIfEEEPS6_S6_23summary_stats_binary_opIfEEE10hipError_tPvRmT1_T2_T3_mT4_P12ihipStream_tbEUlT_E1_NS1_11comp_targetILNS1_3genE10ELNS1_11target_archE1200ELNS1_3gpuE4ELNS1_3repE0EEENS1_30default_config_static_selectorELNS0_4arch9wavefront6targetE1EEEvSR_.num_named_barrier, 0
	.set _ZN7rocprim17ROCPRIM_400000_NS6detail17trampoline_kernelINS0_14default_configENS1_22reduce_config_selectorI18summary_stats_dataIfEEEZNS1_11reduce_implILb1ES3_N6thrust23THRUST_200600_302600_NS11hip_rocprim26transform_input_iterator_tIS6_NSA_6detail15normal_iteratorINSA_10device_ptrIfEEEE22summary_stats_unary_opIfEEEPS6_S6_23summary_stats_binary_opIfEEE10hipError_tPvRmT1_T2_T3_mT4_P12ihipStream_tbEUlT_E1_NS1_11comp_targetILNS1_3genE10ELNS1_11target_archE1200ELNS1_3gpuE4ELNS1_3repE0EEENS1_30default_config_static_selectorELNS0_4arch9wavefront6targetE1EEEvSR_.private_seg_size, 0
	.set _ZN7rocprim17ROCPRIM_400000_NS6detail17trampoline_kernelINS0_14default_configENS1_22reduce_config_selectorI18summary_stats_dataIfEEEZNS1_11reduce_implILb1ES3_N6thrust23THRUST_200600_302600_NS11hip_rocprim26transform_input_iterator_tIS6_NSA_6detail15normal_iteratorINSA_10device_ptrIfEEEE22summary_stats_unary_opIfEEEPS6_S6_23summary_stats_binary_opIfEEE10hipError_tPvRmT1_T2_T3_mT4_P12ihipStream_tbEUlT_E1_NS1_11comp_targetILNS1_3genE10ELNS1_11target_archE1200ELNS1_3gpuE4ELNS1_3repE0EEENS1_30default_config_static_selectorELNS0_4arch9wavefront6targetE1EEEvSR_.uses_vcc, 0
	.set _ZN7rocprim17ROCPRIM_400000_NS6detail17trampoline_kernelINS0_14default_configENS1_22reduce_config_selectorI18summary_stats_dataIfEEEZNS1_11reduce_implILb1ES3_N6thrust23THRUST_200600_302600_NS11hip_rocprim26transform_input_iterator_tIS6_NSA_6detail15normal_iteratorINSA_10device_ptrIfEEEE22summary_stats_unary_opIfEEEPS6_S6_23summary_stats_binary_opIfEEE10hipError_tPvRmT1_T2_T3_mT4_P12ihipStream_tbEUlT_E1_NS1_11comp_targetILNS1_3genE10ELNS1_11target_archE1200ELNS1_3gpuE4ELNS1_3repE0EEENS1_30default_config_static_selectorELNS0_4arch9wavefront6targetE1EEEvSR_.uses_flat_scratch, 0
	.set _ZN7rocprim17ROCPRIM_400000_NS6detail17trampoline_kernelINS0_14default_configENS1_22reduce_config_selectorI18summary_stats_dataIfEEEZNS1_11reduce_implILb1ES3_N6thrust23THRUST_200600_302600_NS11hip_rocprim26transform_input_iterator_tIS6_NSA_6detail15normal_iteratorINSA_10device_ptrIfEEEE22summary_stats_unary_opIfEEEPS6_S6_23summary_stats_binary_opIfEEE10hipError_tPvRmT1_T2_T3_mT4_P12ihipStream_tbEUlT_E1_NS1_11comp_targetILNS1_3genE10ELNS1_11target_archE1200ELNS1_3gpuE4ELNS1_3repE0EEENS1_30default_config_static_selectorELNS0_4arch9wavefront6targetE1EEEvSR_.has_dyn_sized_stack, 0
	.set _ZN7rocprim17ROCPRIM_400000_NS6detail17trampoline_kernelINS0_14default_configENS1_22reduce_config_selectorI18summary_stats_dataIfEEEZNS1_11reduce_implILb1ES3_N6thrust23THRUST_200600_302600_NS11hip_rocprim26transform_input_iterator_tIS6_NSA_6detail15normal_iteratorINSA_10device_ptrIfEEEE22summary_stats_unary_opIfEEEPS6_S6_23summary_stats_binary_opIfEEE10hipError_tPvRmT1_T2_T3_mT4_P12ihipStream_tbEUlT_E1_NS1_11comp_targetILNS1_3genE10ELNS1_11target_archE1200ELNS1_3gpuE4ELNS1_3repE0EEENS1_30default_config_static_selectorELNS0_4arch9wavefront6targetE1EEEvSR_.has_recursion, 0
	.set _ZN7rocprim17ROCPRIM_400000_NS6detail17trampoline_kernelINS0_14default_configENS1_22reduce_config_selectorI18summary_stats_dataIfEEEZNS1_11reduce_implILb1ES3_N6thrust23THRUST_200600_302600_NS11hip_rocprim26transform_input_iterator_tIS6_NSA_6detail15normal_iteratorINSA_10device_ptrIfEEEE22summary_stats_unary_opIfEEEPS6_S6_23summary_stats_binary_opIfEEE10hipError_tPvRmT1_T2_T3_mT4_P12ihipStream_tbEUlT_E1_NS1_11comp_targetILNS1_3genE10ELNS1_11target_archE1200ELNS1_3gpuE4ELNS1_3repE0EEENS1_30default_config_static_selectorELNS0_4arch9wavefront6targetE1EEEvSR_.has_indirect_call, 0
	.section	.AMDGPU.csdata,"",@progbits
; Kernel info:
; codeLenInByte = 0
; TotalNumSgprs: 4
; NumVgprs: 0
; ScratchSize: 0
; MemoryBound: 0
; FloatMode: 240
; IeeeMode: 1
; LDSByteSize: 0 bytes/workgroup (compile time only)
; SGPRBlocks: 0
; VGPRBlocks: 0
; NumSGPRsForWavesPerEU: 4
; NumVGPRsForWavesPerEU: 1
; Occupancy: 10
; WaveLimiterHint : 0
; COMPUTE_PGM_RSRC2:SCRATCH_EN: 0
; COMPUTE_PGM_RSRC2:USER_SGPR: 6
; COMPUTE_PGM_RSRC2:TRAP_HANDLER: 0
; COMPUTE_PGM_RSRC2:TGID_X_EN: 1
; COMPUTE_PGM_RSRC2:TGID_Y_EN: 0
; COMPUTE_PGM_RSRC2:TGID_Z_EN: 0
; COMPUTE_PGM_RSRC2:TIDIG_COMP_CNT: 0
	.section	.text._ZN7rocprim17ROCPRIM_400000_NS6detail17trampoline_kernelINS0_14default_configENS1_22reduce_config_selectorI18summary_stats_dataIfEEEZNS1_11reduce_implILb1ES3_N6thrust23THRUST_200600_302600_NS11hip_rocprim26transform_input_iterator_tIS6_NSA_6detail15normal_iteratorINSA_10device_ptrIfEEEE22summary_stats_unary_opIfEEEPS6_S6_23summary_stats_binary_opIfEEE10hipError_tPvRmT1_T2_T3_mT4_P12ihipStream_tbEUlT_E1_NS1_11comp_targetILNS1_3genE9ELNS1_11target_archE1100ELNS1_3gpuE3ELNS1_3repE0EEENS1_30default_config_static_selectorELNS0_4arch9wavefront6targetE1EEEvSR_,"axG",@progbits,_ZN7rocprim17ROCPRIM_400000_NS6detail17trampoline_kernelINS0_14default_configENS1_22reduce_config_selectorI18summary_stats_dataIfEEEZNS1_11reduce_implILb1ES3_N6thrust23THRUST_200600_302600_NS11hip_rocprim26transform_input_iterator_tIS6_NSA_6detail15normal_iteratorINSA_10device_ptrIfEEEE22summary_stats_unary_opIfEEEPS6_S6_23summary_stats_binary_opIfEEE10hipError_tPvRmT1_T2_T3_mT4_P12ihipStream_tbEUlT_E1_NS1_11comp_targetILNS1_3genE9ELNS1_11target_archE1100ELNS1_3gpuE3ELNS1_3repE0EEENS1_30default_config_static_selectorELNS0_4arch9wavefront6targetE1EEEvSR_,comdat
	.protected	_ZN7rocprim17ROCPRIM_400000_NS6detail17trampoline_kernelINS0_14default_configENS1_22reduce_config_selectorI18summary_stats_dataIfEEEZNS1_11reduce_implILb1ES3_N6thrust23THRUST_200600_302600_NS11hip_rocprim26transform_input_iterator_tIS6_NSA_6detail15normal_iteratorINSA_10device_ptrIfEEEE22summary_stats_unary_opIfEEEPS6_S6_23summary_stats_binary_opIfEEE10hipError_tPvRmT1_T2_T3_mT4_P12ihipStream_tbEUlT_E1_NS1_11comp_targetILNS1_3genE9ELNS1_11target_archE1100ELNS1_3gpuE3ELNS1_3repE0EEENS1_30default_config_static_selectorELNS0_4arch9wavefront6targetE1EEEvSR_ ; -- Begin function _ZN7rocprim17ROCPRIM_400000_NS6detail17trampoline_kernelINS0_14default_configENS1_22reduce_config_selectorI18summary_stats_dataIfEEEZNS1_11reduce_implILb1ES3_N6thrust23THRUST_200600_302600_NS11hip_rocprim26transform_input_iterator_tIS6_NSA_6detail15normal_iteratorINSA_10device_ptrIfEEEE22summary_stats_unary_opIfEEEPS6_S6_23summary_stats_binary_opIfEEE10hipError_tPvRmT1_T2_T3_mT4_P12ihipStream_tbEUlT_E1_NS1_11comp_targetILNS1_3genE9ELNS1_11target_archE1100ELNS1_3gpuE3ELNS1_3repE0EEENS1_30default_config_static_selectorELNS0_4arch9wavefront6targetE1EEEvSR_
	.globl	_ZN7rocprim17ROCPRIM_400000_NS6detail17trampoline_kernelINS0_14default_configENS1_22reduce_config_selectorI18summary_stats_dataIfEEEZNS1_11reduce_implILb1ES3_N6thrust23THRUST_200600_302600_NS11hip_rocprim26transform_input_iterator_tIS6_NSA_6detail15normal_iteratorINSA_10device_ptrIfEEEE22summary_stats_unary_opIfEEEPS6_S6_23summary_stats_binary_opIfEEE10hipError_tPvRmT1_T2_T3_mT4_P12ihipStream_tbEUlT_E1_NS1_11comp_targetILNS1_3genE9ELNS1_11target_archE1100ELNS1_3gpuE3ELNS1_3repE0EEENS1_30default_config_static_selectorELNS0_4arch9wavefront6targetE1EEEvSR_
	.p2align	8
	.type	_ZN7rocprim17ROCPRIM_400000_NS6detail17trampoline_kernelINS0_14default_configENS1_22reduce_config_selectorI18summary_stats_dataIfEEEZNS1_11reduce_implILb1ES3_N6thrust23THRUST_200600_302600_NS11hip_rocprim26transform_input_iterator_tIS6_NSA_6detail15normal_iteratorINSA_10device_ptrIfEEEE22summary_stats_unary_opIfEEEPS6_S6_23summary_stats_binary_opIfEEE10hipError_tPvRmT1_T2_T3_mT4_P12ihipStream_tbEUlT_E1_NS1_11comp_targetILNS1_3genE9ELNS1_11target_archE1100ELNS1_3gpuE3ELNS1_3repE0EEENS1_30default_config_static_selectorELNS0_4arch9wavefront6targetE1EEEvSR_,@function
_ZN7rocprim17ROCPRIM_400000_NS6detail17trampoline_kernelINS0_14default_configENS1_22reduce_config_selectorI18summary_stats_dataIfEEEZNS1_11reduce_implILb1ES3_N6thrust23THRUST_200600_302600_NS11hip_rocprim26transform_input_iterator_tIS6_NSA_6detail15normal_iteratorINSA_10device_ptrIfEEEE22summary_stats_unary_opIfEEEPS6_S6_23summary_stats_binary_opIfEEE10hipError_tPvRmT1_T2_T3_mT4_P12ihipStream_tbEUlT_E1_NS1_11comp_targetILNS1_3genE9ELNS1_11target_archE1100ELNS1_3gpuE3ELNS1_3repE0EEENS1_30default_config_static_selectorELNS0_4arch9wavefront6targetE1EEEvSR_: ; @_ZN7rocprim17ROCPRIM_400000_NS6detail17trampoline_kernelINS0_14default_configENS1_22reduce_config_selectorI18summary_stats_dataIfEEEZNS1_11reduce_implILb1ES3_N6thrust23THRUST_200600_302600_NS11hip_rocprim26transform_input_iterator_tIS6_NSA_6detail15normal_iteratorINSA_10device_ptrIfEEEE22summary_stats_unary_opIfEEEPS6_S6_23summary_stats_binary_opIfEEE10hipError_tPvRmT1_T2_T3_mT4_P12ihipStream_tbEUlT_E1_NS1_11comp_targetILNS1_3genE9ELNS1_11target_archE1100ELNS1_3gpuE3ELNS1_3repE0EEENS1_30default_config_static_selectorELNS0_4arch9wavefront6targetE1EEEvSR_
; %bb.0:
	.section	.rodata,"a",@progbits
	.p2align	6, 0x0
	.amdhsa_kernel _ZN7rocprim17ROCPRIM_400000_NS6detail17trampoline_kernelINS0_14default_configENS1_22reduce_config_selectorI18summary_stats_dataIfEEEZNS1_11reduce_implILb1ES3_N6thrust23THRUST_200600_302600_NS11hip_rocprim26transform_input_iterator_tIS6_NSA_6detail15normal_iteratorINSA_10device_ptrIfEEEE22summary_stats_unary_opIfEEEPS6_S6_23summary_stats_binary_opIfEEE10hipError_tPvRmT1_T2_T3_mT4_P12ihipStream_tbEUlT_E1_NS1_11comp_targetILNS1_3genE9ELNS1_11target_archE1100ELNS1_3gpuE3ELNS1_3repE0EEENS1_30default_config_static_selectorELNS0_4arch9wavefront6targetE1EEEvSR_
		.amdhsa_group_segment_fixed_size 0
		.amdhsa_private_segment_fixed_size 0
		.amdhsa_kernarg_size 72
		.amdhsa_user_sgpr_count 6
		.amdhsa_user_sgpr_private_segment_buffer 1
		.amdhsa_user_sgpr_dispatch_ptr 0
		.amdhsa_user_sgpr_queue_ptr 0
		.amdhsa_user_sgpr_kernarg_segment_ptr 1
		.amdhsa_user_sgpr_dispatch_id 0
		.amdhsa_user_sgpr_flat_scratch_init 0
		.amdhsa_user_sgpr_private_segment_size 0
		.amdhsa_uses_dynamic_stack 0
		.amdhsa_system_sgpr_private_segment_wavefront_offset 0
		.amdhsa_system_sgpr_workgroup_id_x 1
		.amdhsa_system_sgpr_workgroup_id_y 0
		.amdhsa_system_sgpr_workgroup_id_z 0
		.amdhsa_system_sgpr_workgroup_info 0
		.amdhsa_system_vgpr_workitem_id 0
		.amdhsa_next_free_vgpr 1
		.amdhsa_next_free_sgpr 0
		.amdhsa_reserve_vcc 0
		.amdhsa_reserve_flat_scratch 0
		.amdhsa_float_round_mode_32 0
		.amdhsa_float_round_mode_16_64 0
		.amdhsa_float_denorm_mode_32 3
		.amdhsa_float_denorm_mode_16_64 3
		.amdhsa_dx10_clamp 1
		.amdhsa_ieee_mode 1
		.amdhsa_fp16_overflow 0
		.amdhsa_exception_fp_ieee_invalid_op 0
		.amdhsa_exception_fp_denorm_src 0
		.amdhsa_exception_fp_ieee_div_zero 0
		.amdhsa_exception_fp_ieee_overflow 0
		.amdhsa_exception_fp_ieee_underflow 0
		.amdhsa_exception_fp_ieee_inexact 0
		.amdhsa_exception_int_div_zero 0
	.end_amdhsa_kernel
	.section	.text._ZN7rocprim17ROCPRIM_400000_NS6detail17trampoline_kernelINS0_14default_configENS1_22reduce_config_selectorI18summary_stats_dataIfEEEZNS1_11reduce_implILb1ES3_N6thrust23THRUST_200600_302600_NS11hip_rocprim26transform_input_iterator_tIS6_NSA_6detail15normal_iteratorINSA_10device_ptrIfEEEE22summary_stats_unary_opIfEEEPS6_S6_23summary_stats_binary_opIfEEE10hipError_tPvRmT1_T2_T3_mT4_P12ihipStream_tbEUlT_E1_NS1_11comp_targetILNS1_3genE9ELNS1_11target_archE1100ELNS1_3gpuE3ELNS1_3repE0EEENS1_30default_config_static_selectorELNS0_4arch9wavefront6targetE1EEEvSR_,"axG",@progbits,_ZN7rocprim17ROCPRIM_400000_NS6detail17trampoline_kernelINS0_14default_configENS1_22reduce_config_selectorI18summary_stats_dataIfEEEZNS1_11reduce_implILb1ES3_N6thrust23THRUST_200600_302600_NS11hip_rocprim26transform_input_iterator_tIS6_NSA_6detail15normal_iteratorINSA_10device_ptrIfEEEE22summary_stats_unary_opIfEEEPS6_S6_23summary_stats_binary_opIfEEE10hipError_tPvRmT1_T2_T3_mT4_P12ihipStream_tbEUlT_E1_NS1_11comp_targetILNS1_3genE9ELNS1_11target_archE1100ELNS1_3gpuE3ELNS1_3repE0EEENS1_30default_config_static_selectorELNS0_4arch9wavefront6targetE1EEEvSR_,comdat
.Lfunc_end34:
	.size	_ZN7rocprim17ROCPRIM_400000_NS6detail17trampoline_kernelINS0_14default_configENS1_22reduce_config_selectorI18summary_stats_dataIfEEEZNS1_11reduce_implILb1ES3_N6thrust23THRUST_200600_302600_NS11hip_rocprim26transform_input_iterator_tIS6_NSA_6detail15normal_iteratorINSA_10device_ptrIfEEEE22summary_stats_unary_opIfEEEPS6_S6_23summary_stats_binary_opIfEEE10hipError_tPvRmT1_T2_T3_mT4_P12ihipStream_tbEUlT_E1_NS1_11comp_targetILNS1_3genE9ELNS1_11target_archE1100ELNS1_3gpuE3ELNS1_3repE0EEENS1_30default_config_static_selectorELNS0_4arch9wavefront6targetE1EEEvSR_, .Lfunc_end34-_ZN7rocprim17ROCPRIM_400000_NS6detail17trampoline_kernelINS0_14default_configENS1_22reduce_config_selectorI18summary_stats_dataIfEEEZNS1_11reduce_implILb1ES3_N6thrust23THRUST_200600_302600_NS11hip_rocprim26transform_input_iterator_tIS6_NSA_6detail15normal_iteratorINSA_10device_ptrIfEEEE22summary_stats_unary_opIfEEEPS6_S6_23summary_stats_binary_opIfEEE10hipError_tPvRmT1_T2_T3_mT4_P12ihipStream_tbEUlT_E1_NS1_11comp_targetILNS1_3genE9ELNS1_11target_archE1100ELNS1_3gpuE3ELNS1_3repE0EEENS1_30default_config_static_selectorELNS0_4arch9wavefront6targetE1EEEvSR_
                                        ; -- End function
	.set _ZN7rocprim17ROCPRIM_400000_NS6detail17trampoline_kernelINS0_14default_configENS1_22reduce_config_selectorI18summary_stats_dataIfEEEZNS1_11reduce_implILb1ES3_N6thrust23THRUST_200600_302600_NS11hip_rocprim26transform_input_iterator_tIS6_NSA_6detail15normal_iteratorINSA_10device_ptrIfEEEE22summary_stats_unary_opIfEEEPS6_S6_23summary_stats_binary_opIfEEE10hipError_tPvRmT1_T2_T3_mT4_P12ihipStream_tbEUlT_E1_NS1_11comp_targetILNS1_3genE9ELNS1_11target_archE1100ELNS1_3gpuE3ELNS1_3repE0EEENS1_30default_config_static_selectorELNS0_4arch9wavefront6targetE1EEEvSR_.num_vgpr, 0
	.set _ZN7rocprim17ROCPRIM_400000_NS6detail17trampoline_kernelINS0_14default_configENS1_22reduce_config_selectorI18summary_stats_dataIfEEEZNS1_11reduce_implILb1ES3_N6thrust23THRUST_200600_302600_NS11hip_rocprim26transform_input_iterator_tIS6_NSA_6detail15normal_iteratorINSA_10device_ptrIfEEEE22summary_stats_unary_opIfEEEPS6_S6_23summary_stats_binary_opIfEEE10hipError_tPvRmT1_T2_T3_mT4_P12ihipStream_tbEUlT_E1_NS1_11comp_targetILNS1_3genE9ELNS1_11target_archE1100ELNS1_3gpuE3ELNS1_3repE0EEENS1_30default_config_static_selectorELNS0_4arch9wavefront6targetE1EEEvSR_.num_agpr, 0
	.set _ZN7rocprim17ROCPRIM_400000_NS6detail17trampoline_kernelINS0_14default_configENS1_22reduce_config_selectorI18summary_stats_dataIfEEEZNS1_11reduce_implILb1ES3_N6thrust23THRUST_200600_302600_NS11hip_rocprim26transform_input_iterator_tIS6_NSA_6detail15normal_iteratorINSA_10device_ptrIfEEEE22summary_stats_unary_opIfEEEPS6_S6_23summary_stats_binary_opIfEEE10hipError_tPvRmT1_T2_T3_mT4_P12ihipStream_tbEUlT_E1_NS1_11comp_targetILNS1_3genE9ELNS1_11target_archE1100ELNS1_3gpuE3ELNS1_3repE0EEENS1_30default_config_static_selectorELNS0_4arch9wavefront6targetE1EEEvSR_.numbered_sgpr, 0
	.set _ZN7rocprim17ROCPRIM_400000_NS6detail17trampoline_kernelINS0_14default_configENS1_22reduce_config_selectorI18summary_stats_dataIfEEEZNS1_11reduce_implILb1ES3_N6thrust23THRUST_200600_302600_NS11hip_rocprim26transform_input_iterator_tIS6_NSA_6detail15normal_iteratorINSA_10device_ptrIfEEEE22summary_stats_unary_opIfEEEPS6_S6_23summary_stats_binary_opIfEEE10hipError_tPvRmT1_T2_T3_mT4_P12ihipStream_tbEUlT_E1_NS1_11comp_targetILNS1_3genE9ELNS1_11target_archE1100ELNS1_3gpuE3ELNS1_3repE0EEENS1_30default_config_static_selectorELNS0_4arch9wavefront6targetE1EEEvSR_.num_named_barrier, 0
	.set _ZN7rocprim17ROCPRIM_400000_NS6detail17trampoline_kernelINS0_14default_configENS1_22reduce_config_selectorI18summary_stats_dataIfEEEZNS1_11reduce_implILb1ES3_N6thrust23THRUST_200600_302600_NS11hip_rocprim26transform_input_iterator_tIS6_NSA_6detail15normal_iteratorINSA_10device_ptrIfEEEE22summary_stats_unary_opIfEEEPS6_S6_23summary_stats_binary_opIfEEE10hipError_tPvRmT1_T2_T3_mT4_P12ihipStream_tbEUlT_E1_NS1_11comp_targetILNS1_3genE9ELNS1_11target_archE1100ELNS1_3gpuE3ELNS1_3repE0EEENS1_30default_config_static_selectorELNS0_4arch9wavefront6targetE1EEEvSR_.private_seg_size, 0
	.set _ZN7rocprim17ROCPRIM_400000_NS6detail17trampoline_kernelINS0_14default_configENS1_22reduce_config_selectorI18summary_stats_dataIfEEEZNS1_11reduce_implILb1ES3_N6thrust23THRUST_200600_302600_NS11hip_rocprim26transform_input_iterator_tIS6_NSA_6detail15normal_iteratorINSA_10device_ptrIfEEEE22summary_stats_unary_opIfEEEPS6_S6_23summary_stats_binary_opIfEEE10hipError_tPvRmT1_T2_T3_mT4_P12ihipStream_tbEUlT_E1_NS1_11comp_targetILNS1_3genE9ELNS1_11target_archE1100ELNS1_3gpuE3ELNS1_3repE0EEENS1_30default_config_static_selectorELNS0_4arch9wavefront6targetE1EEEvSR_.uses_vcc, 0
	.set _ZN7rocprim17ROCPRIM_400000_NS6detail17trampoline_kernelINS0_14default_configENS1_22reduce_config_selectorI18summary_stats_dataIfEEEZNS1_11reduce_implILb1ES3_N6thrust23THRUST_200600_302600_NS11hip_rocprim26transform_input_iterator_tIS6_NSA_6detail15normal_iteratorINSA_10device_ptrIfEEEE22summary_stats_unary_opIfEEEPS6_S6_23summary_stats_binary_opIfEEE10hipError_tPvRmT1_T2_T3_mT4_P12ihipStream_tbEUlT_E1_NS1_11comp_targetILNS1_3genE9ELNS1_11target_archE1100ELNS1_3gpuE3ELNS1_3repE0EEENS1_30default_config_static_selectorELNS0_4arch9wavefront6targetE1EEEvSR_.uses_flat_scratch, 0
	.set _ZN7rocprim17ROCPRIM_400000_NS6detail17trampoline_kernelINS0_14default_configENS1_22reduce_config_selectorI18summary_stats_dataIfEEEZNS1_11reduce_implILb1ES3_N6thrust23THRUST_200600_302600_NS11hip_rocprim26transform_input_iterator_tIS6_NSA_6detail15normal_iteratorINSA_10device_ptrIfEEEE22summary_stats_unary_opIfEEEPS6_S6_23summary_stats_binary_opIfEEE10hipError_tPvRmT1_T2_T3_mT4_P12ihipStream_tbEUlT_E1_NS1_11comp_targetILNS1_3genE9ELNS1_11target_archE1100ELNS1_3gpuE3ELNS1_3repE0EEENS1_30default_config_static_selectorELNS0_4arch9wavefront6targetE1EEEvSR_.has_dyn_sized_stack, 0
	.set _ZN7rocprim17ROCPRIM_400000_NS6detail17trampoline_kernelINS0_14default_configENS1_22reduce_config_selectorI18summary_stats_dataIfEEEZNS1_11reduce_implILb1ES3_N6thrust23THRUST_200600_302600_NS11hip_rocprim26transform_input_iterator_tIS6_NSA_6detail15normal_iteratorINSA_10device_ptrIfEEEE22summary_stats_unary_opIfEEEPS6_S6_23summary_stats_binary_opIfEEE10hipError_tPvRmT1_T2_T3_mT4_P12ihipStream_tbEUlT_E1_NS1_11comp_targetILNS1_3genE9ELNS1_11target_archE1100ELNS1_3gpuE3ELNS1_3repE0EEENS1_30default_config_static_selectorELNS0_4arch9wavefront6targetE1EEEvSR_.has_recursion, 0
	.set _ZN7rocprim17ROCPRIM_400000_NS6detail17trampoline_kernelINS0_14default_configENS1_22reduce_config_selectorI18summary_stats_dataIfEEEZNS1_11reduce_implILb1ES3_N6thrust23THRUST_200600_302600_NS11hip_rocprim26transform_input_iterator_tIS6_NSA_6detail15normal_iteratorINSA_10device_ptrIfEEEE22summary_stats_unary_opIfEEEPS6_S6_23summary_stats_binary_opIfEEE10hipError_tPvRmT1_T2_T3_mT4_P12ihipStream_tbEUlT_E1_NS1_11comp_targetILNS1_3genE9ELNS1_11target_archE1100ELNS1_3gpuE3ELNS1_3repE0EEENS1_30default_config_static_selectorELNS0_4arch9wavefront6targetE1EEEvSR_.has_indirect_call, 0
	.section	.AMDGPU.csdata,"",@progbits
; Kernel info:
; codeLenInByte = 0
; TotalNumSgprs: 4
; NumVgprs: 0
; ScratchSize: 0
; MemoryBound: 0
; FloatMode: 240
; IeeeMode: 1
; LDSByteSize: 0 bytes/workgroup (compile time only)
; SGPRBlocks: 0
; VGPRBlocks: 0
; NumSGPRsForWavesPerEU: 4
; NumVGPRsForWavesPerEU: 1
; Occupancy: 10
; WaveLimiterHint : 0
; COMPUTE_PGM_RSRC2:SCRATCH_EN: 0
; COMPUTE_PGM_RSRC2:USER_SGPR: 6
; COMPUTE_PGM_RSRC2:TRAP_HANDLER: 0
; COMPUTE_PGM_RSRC2:TGID_X_EN: 1
; COMPUTE_PGM_RSRC2:TGID_Y_EN: 0
; COMPUTE_PGM_RSRC2:TGID_Z_EN: 0
; COMPUTE_PGM_RSRC2:TIDIG_COMP_CNT: 0
	.section	.text._ZN7rocprim17ROCPRIM_400000_NS6detail17trampoline_kernelINS0_14default_configENS1_22reduce_config_selectorI18summary_stats_dataIfEEEZNS1_11reduce_implILb1ES3_N6thrust23THRUST_200600_302600_NS11hip_rocprim26transform_input_iterator_tIS6_NSA_6detail15normal_iteratorINSA_10device_ptrIfEEEE22summary_stats_unary_opIfEEEPS6_S6_23summary_stats_binary_opIfEEE10hipError_tPvRmT1_T2_T3_mT4_P12ihipStream_tbEUlT_E1_NS1_11comp_targetILNS1_3genE8ELNS1_11target_archE1030ELNS1_3gpuE2ELNS1_3repE0EEENS1_30default_config_static_selectorELNS0_4arch9wavefront6targetE1EEEvSR_,"axG",@progbits,_ZN7rocprim17ROCPRIM_400000_NS6detail17trampoline_kernelINS0_14default_configENS1_22reduce_config_selectorI18summary_stats_dataIfEEEZNS1_11reduce_implILb1ES3_N6thrust23THRUST_200600_302600_NS11hip_rocprim26transform_input_iterator_tIS6_NSA_6detail15normal_iteratorINSA_10device_ptrIfEEEE22summary_stats_unary_opIfEEEPS6_S6_23summary_stats_binary_opIfEEE10hipError_tPvRmT1_T2_T3_mT4_P12ihipStream_tbEUlT_E1_NS1_11comp_targetILNS1_3genE8ELNS1_11target_archE1030ELNS1_3gpuE2ELNS1_3repE0EEENS1_30default_config_static_selectorELNS0_4arch9wavefront6targetE1EEEvSR_,comdat
	.protected	_ZN7rocprim17ROCPRIM_400000_NS6detail17trampoline_kernelINS0_14default_configENS1_22reduce_config_selectorI18summary_stats_dataIfEEEZNS1_11reduce_implILb1ES3_N6thrust23THRUST_200600_302600_NS11hip_rocprim26transform_input_iterator_tIS6_NSA_6detail15normal_iteratorINSA_10device_ptrIfEEEE22summary_stats_unary_opIfEEEPS6_S6_23summary_stats_binary_opIfEEE10hipError_tPvRmT1_T2_T3_mT4_P12ihipStream_tbEUlT_E1_NS1_11comp_targetILNS1_3genE8ELNS1_11target_archE1030ELNS1_3gpuE2ELNS1_3repE0EEENS1_30default_config_static_selectorELNS0_4arch9wavefront6targetE1EEEvSR_ ; -- Begin function _ZN7rocprim17ROCPRIM_400000_NS6detail17trampoline_kernelINS0_14default_configENS1_22reduce_config_selectorI18summary_stats_dataIfEEEZNS1_11reduce_implILb1ES3_N6thrust23THRUST_200600_302600_NS11hip_rocprim26transform_input_iterator_tIS6_NSA_6detail15normal_iteratorINSA_10device_ptrIfEEEE22summary_stats_unary_opIfEEEPS6_S6_23summary_stats_binary_opIfEEE10hipError_tPvRmT1_T2_T3_mT4_P12ihipStream_tbEUlT_E1_NS1_11comp_targetILNS1_3genE8ELNS1_11target_archE1030ELNS1_3gpuE2ELNS1_3repE0EEENS1_30default_config_static_selectorELNS0_4arch9wavefront6targetE1EEEvSR_
	.globl	_ZN7rocprim17ROCPRIM_400000_NS6detail17trampoline_kernelINS0_14default_configENS1_22reduce_config_selectorI18summary_stats_dataIfEEEZNS1_11reduce_implILb1ES3_N6thrust23THRUST_200600_302600_NS11hip_rocprim26transform_input_iterator_tIS6_NSA_6detail15normal_iteratorINSA_10device_ptrIfEEEE22summary_stats_unary_opIfEEEPS6_S6_23summary_stats_binary_opIfEEE10hipError_tPvRmT1_T2_T3_mT4_P12ihipStream_tbEUlT_E1_NS1_11comp_targetILNS1_3genE8ELNS1_11target_archE1030ELNS1_3gpuE2ELNS1_3repE0EEENS1_30default_config_static_selectorELNS0_4arch9wavefront6targetE1EEEvSR_
	.p2align	8
	.type	_ZN7rocprim17ROCPRIM_400000_NS6detail17trampoline_kernelINS0_14default_configENS1_22reduce_config_selectorI18summary_stats_dataIfEEEZNS1_11reduce_implILb1ES3_N6thrust23THRUST_200600_302600_NS11hip_rocprim26transform_input_iterator_tIS6_NSA_6detail15normal_iteratorINSA_10device_ptrIfEEEE22summary_stats_unary_opIfEEEPS6_S6_23summary_stats_binary_opIfEEE10hipError_tPvRmT1_T2_T3_mT4_P12ihipStream_tbEUlT_E1_NS1_11comp_targetILNS1_3genE8ELNS1_11target_archE1030ELNS1_3gpuE2ELNS1_3repE0EEENS1_30default_config_static_selectorELNS0_4arch9wavefront6targetE1EEEvSR_,@function
_ZN7rocprim17ROCPRIM_400000_NS6detail17trampoline_kernelINS0_14default_configENS1_22reduce_config_selectorI18summary_stats_dataIfEEEZNS1_11reduce_implILb1ES3_N6thrust23THRUST_200600_302600_NS11hip_rocprim26transform_input_iterator_tIS6_NSA_6detail15normal_iteratorINSA_10device_ptrIfEEEE22summary_stats_unary_opIfEEEPS6_S6_23summary_stats_binary_opIfEEE10hipError_tPvRmT1_T2_T3_mT4_P12ihipStream_tbEUlT_E1_NS1_11comp_targetILNS1_3genE8ELNS1_11target_archE1030ELNS1_3gpuE2ELNS1_3repE0EEENS1_30default_config_static_selectorELNS0_4arch9wavefront6targetE1EEEvSR_: ; @_ZN7rocprim17ROCPRIM_400000_NS6detail17trampoline_kernelINS0_14default_configENS1_22reduce_config_selectorI18summary_stats_dataIfEEEZNS1_11reduce_implILb1ES3_N6thrust23THRUST_200600_302600_NS11hip_rocprim26transform_input_iterator_tIS6_NSA_6detail15normal_iteratorINSA_10device_ptrIfEEEE22summary_stats_unary_opIfEEEPS6_S6_23summary_stats_binary_opIfEEE10hipError_tPvRmT1_T2_T3_mT4_P12ihipStream_tbEUlT_E1_NS1_11comp_targetILNS1_3genE8ELNS1_11target_archE1030ELNS1_3gpuE2ELNS1_3repE0EEENS1_30default_config_static_selectorELNS0_4arch9wavefront6targetE1EEEvSR_
; %bb.0:
	.section	.rodata,"a",@progbits
	.p2align	6, 0x0
	.amdhsa_kernel _ZN7rocprim17ROCPRIM_400000_NS6detail17trampoline_kernelINS0_14default_configENS1_22reduce_config_selectorI18summary_stats_dataIfEEEZNS1_11reduce_implILb1ES3_N6thrust23THRUST_200600_302600_NS11hip_rocprim26transform_input_iterator_tIS6_NSA_6detail15normal_iteratorINSA_10device_ptrIfEEEE22summary_stats_unary_opIfEEEPS6_S6_23summary_stats_binary_opIfEEE10hipError_tPvRmT1_T2_T3_mT4_P12ihipStream_tbEUlT_E1_NS1_11comp_targetILNS1_3genE8ELNS1_11target_archE1030ELNS1_3gpuE2ELNS1_3repE0EEENS1_30default_config_static_selectorELNS0_4arch9wavefront6targetE1EEEvSR_
		.amdhsa_group_segment_fixed_size 0
		.amdhsa_private_segment_fixed_size 0
		.amdhsa_kernarg_size 72
		.amdhsa_user_sgpr_count 6
		.amdhsa_user_sgpr_private_segment_buffer 1
		.amdhsa_user_sgpr_dispatch_ptr 0
		.amdhsa_user_sgpr_queue_ptr 0
		.amdhsa_user_sgpr_kernarg_segment_ptr 1
		.amdhsa_user_sgpr_dispatch_id 0
		.amdhsa_user_sgpr_flat_scratch_init 0
		.amdhsa_user_sgpr_private_segment_size 0
		.amdhsa_uses_dynamic_stack 0
		.amdhsa_system_sgpr_private_segment_wavefront_offset 0
		.amdhsa_system_sgpr_workgroup_id_x 1
		.amdhsa_system_sgpr_workgroup_id_y 0
		.amdhsa_system_sgpr_workgroup_id_z 0
		.amdhsa_system_sgpr_workgroup_info 0
		.amdhsa_system_vgpr_workitem_id 0
		.amdhsa_next_free_vgpr 1
		.amdhsa_next_free_sgpr 0
		.amdhsa_reserve_vcc 0
		.amdhsa_reserve_flat_scratch 0
		.amdhsa_float_round_mode_32 0
		.amdhsa_float_round_mode_16_64 0
		.amdhsa_float_denorm_mode_32 3
		.amdhsa_float_denorm_mode_16_64 3
		.amdhsa_dx10_clamp 1
		.amdhsa_ieee_mode 1
		.amdhsa_fp16_overflow 0
		.amdhsa_exception_fp_ieee_invalid_op 0
		.amdhsa_exception_fp_denorm_src 0
		.amdhsa_exception_fp_ieee_div_zero 0
		.amdhsa_exception_fp_ieee_overflow 0
		.amdhsa_exception_fp_ieee_underflow 0
		.amdhsa_exception_fp_ieee_inexact 0
		.amdhsa_exception_int_div_zero 0
	.end_amdhsa_kernel
	.section	.text._ZN7rocprim17ROCPRIM_400000_NS6detail17trampoline_kernelINS0_14default_configENS1_22reduce_config_selectorI18summary_stats_dataIfEEEZNS1_11reduce_implILb1ES3_N6thrust23THRUST_200600_302600_NS11hip_rocprim26transform_input_iterator_tIS6_NSA_6detail15normal_iteratorINSA_10device_ptrIfEEEE22summary_stats_unary_opIfEEEPS6_S6_23summary_stats_binary_opIfEEE10hipError_tPvRmT1_T2_T3_mT4_P12ihipStream_tbEUlT_E1_NS1_11comp_targetILNS1_3genE8ELNS1_11target_archE1030ELNS1_3gpuE2ELNS1_3repE0EEENS1_30default_config_static_selectorELNS0_4arch9wavefront6targetE1EEEvSR_,"axG",@progbits,_ZN7rocprim17ROCPRIM_400000_NS6detail17trampoline_kernelINS0_14default_configENS1_22reduce_config_selectorI18summary_stats_dataIfEEEZNS1_11reduce_implILb1ES3_N6thrust23THRUST_200600_302600_NS11hip_rocprim26transform_input_iterator_tIS6_NSA_6detail15normal_iteratorINSA_10device_ptrIfEEEE22summary_stats_unary_opIfEEEPS6_S6_23summary_stats_binary_opIfEEE10hipError_tPvRmT1_T2_T3_mT4_P12ihipStream_tbEUlT_E1_NS1_11comp_targetILNS1_3genE8ELNS1_11target_archE1030ELNS1_3gpuE2ELNS1_3repE0EEENS1_30default_config_static_selectorELNS0_4arch9wavefront6targetE1EEEvSR_,comdat
.Lfunc_end35:
	.size	_ZN7rocprim17ROCPRIM_400000_NS6detail17trampoline_kernelINS0_14default_configENS1_22reduce_config_selectorI18summary_stats_dataIfEEEZNS1_11reduce_implILb1ES3_N6thrust23THRUST_200600_302600_NS11hip_rocprim26transform_input_iterator_tIS6_NSA_6detail15normal_iteratorINSA_10device_ptrIfEEEE22summary_stats_unary_opIfEEEPS6_S6_23summary_stats_binary_opIfEEE10hipError_tPvRmT1_T2_T3_mT4_P12ihipStream_tbEUlT_E1_NS1_11comp_targetILNS1_3genE8ELNS1_11target_archE1030ELNS1_3gpuE2ELNS1_3repE0EEENS1_30default_config_static_selectorELNS0_4arch9wavefront6targetE1EEEvSR_, .Lfunc_end35-_ZN7rocprim17ROCPRIM_400000_NS6detail17trampoline_kernelINS0_14default_configENS1_22reduce_config_selectorI18summary_stats_dataIfEEEZNS1_11reduce_implILb1ES3_N6thrust23THRUST_200600_302600_NS11hip_rocprim26transform_input_iterator_tIS6_NSA_6detail15normal_iteratorINSA_10device_ptrIfEEEE22summary_stats_unary_opIfEEEPS6_S6_23summary_stats_binary_opIfEEE10hipError_tPvRmT1_T2_T3_mT4_P12ihipStream_tbEUlT_E1_NS1_11comp_targetILNS1_3genE8ELNS1_11target_archE1030ELNS1_3gpuE2ELNS1_3repE0EEENS1_30default_config_static_selectorELNS0_4arch9wavefront6targetE1EEEvSR_
                                        ; -- End function
	.set _ZN7rocprim17ROCPRIM_400000_NS6detail17trampoline_kernelINS0_14default_configENS1_22reduce_config_selectorI18summary_stats_dataIfEEEZNS1_11reduce_implILb1ES3_N6thrust23THRUST_200600_302600_NS11hip_rocprim26transform_input_iterator_tIS6_NSA_6detail15normal_iteratorINSA_10device_ptrIfEEEE22summary_stats_unary_opIfEEEPS6_S6_23summary_stats_binary_opIfEEE10hipError_tPvRmT1_T2_T3_mT4_P12ihipStream_tbEUlT_E1_NS1_11comp_targetILNS1_3genE8ELNS1_11target_archE1030ELNS1_3gpuE2ELNS1_3repE0EEENS1_30default_config_static_selectorELNS0_4arch9wavefront6targetE1EEEvSR_.num_vgpr, 0
	.set _ZN7rocprim17ROCPRIM_400000_NS6detail17trampoline_kernelINS0_14default_configENS1_22reduce_config_selectorI18summary_stats_dataIfEEEZNS1_11reduce_implILb1ES3_N6thrust23THRUST_200600_302600_NS11hip_rocprim26transform_input_iterator_tIS6_NSA_6detail15normal_iteratorINSA_10device_ptrIfEEEE22summary_stats_unary_opIfEEEPS6_S6_23summary_stats_binary_opIfEEE10hipError_tPvRmT1_T2_T3_mT4_P12ihipStream_tbEUlT_E1_NS1_11comp_targetILNS1_3genE8ELNS1_11target_archE1030ELNS1_3gpuE2ELNS1_3repE0EEENS1_30default_config_static_selectorELNS0_4arch9wavefront6targetE1EEEvSR_.num_agpr, 0
	.set _ZN7rocprim17ROCPRIM_400000_NS6detail17trampoline_kernelINS0_14default_configENS1_22reduce_config_selectorI18summary_stats_dataIfEEEZNS1_11reduce_implILb1ES3_N6thrust23THRUST_200600_302600_NS11hip_rocprim26transform_input_iterator_tIS6_NSA_6detail15normal_iteratorINSA_10device_ptrIfEEEE22summary_stats_unary_opIfEEEPS6_S6_23summary_stats_binary_opIfEEE10hipError_tPvRmT1_T2_T3_mT4_P12ihipStream_tbEUlT_E1_NS1_11comp_targetILNS1_3genE8ELNS1_11target_archE1030ELNS1_3gpuE2ELNS1_3repE0EEENS1_30default_config_static_selectorELNS0_4arch9wavefront6targetE1EEEvSR_.numbered_sgpr, 0
	.set _ZN7rocprim17ROCPRIM_400000_NS6detail17trampoline_kernelINS0_14default_configENS1_22reduce_config_selectorI18summary_stats_dataIfEEEZNS1_11reduce_implILb1ES3_N6thrust23THRUST_200600_302600_NS11hip_rocprim26transform_input_iterator_tIS6_NSA_6detail15normal_iteratorINSA_10device_ptrIfEEEE22summary_stats_unary_opIfEEEPS6_S6_23summary_stats_binary_opIfEEE10hipError_tPvRmT1_T2_T3_mT4_P12ihipStream_tbEUlT_E1_NS1_11comp_targetILNS1_3genE8ELNS1_11target_archE1030ELNS1_3gpuE2ELNS1_3repE0EEENS1_30default_config_static_selectorELNS0_4arch9wavefront6targetE1EEEvSR_.num_named_barrier, 0
	.set _ZN7rocprim17ROCPRIM_400000_NS6detail17trampoline_kernelINS0_14default_configENS1_22reduce_config_selectorI18summary_stats_dataIfEEEZNS1_11reduce_implILb1ES3_N6thrust23THRUST_200600_302600_NS11hip_rocprim26transform_input_iterator_tIS6_NSA_6detail15normal_iteratorINSA_10device_ptrIfEEEE22summary_stats_unary_opIfEEEPS6_S6_23summary_stats_binary_opIfEEE10hipError_tPvRmT1_T2_T3_mT4_P12ihipStream_tbEUlT_E1_NS1_11comp_targetILNS1_3genE8ELNS1_11target_archE1030ELNS1_3gpuE2ELNS1_3repE0EEENS1_30default_config_static_selectorELNS0_4arch9wavefront6targetE1EEEvSR_.private_seg_size, 0
	.set _ZN7rocprim17ROCPRIM_400000_NS6detail17trampoline_kernelINS0_14default_configENS1_22reduce_config_selectorI18summary_stats_dataIfEEEZNS1_11reduce_implILb1ES3_N6thrust23THRUST_200600_302600_NS11hip_rocprim26transform_input_iterator_tIS6_NSA_6detail15normal_iteratorINSA_10device_ptrIfEEEE22summary_stats_unary_opIfEEEPS6_S6_23summary_stats_binary_opIfEEE10hipError_tPvRmT1_T2_T3_mT4_P12ihipStream_tbEUlT_E1_NS1_11comp_targetILNS1_3genE8ELNS1_11target_archE1030ELNS1_3gpuE2ELNS1_3repE0EEENS1_30default_config_static_selectorELNS0_4arch9wavefront6targetE1EEEvSR_.uses_vcc, 0
	.set _ZN7rocprim17ROCPRIM_400000_NS6detail17trampoline_kernelINS0_14default_configENS1_22reduce_config_selectorI18summary_stats_dataIfEEEZNS1_11reduce_implILb1ES3_N6thrust23THRUST_200600_302600_NS11hip_rocprim26transform_input_iterator_tIS6_NSA_6detail15normal_iteratorINSA_10device_ptrIfEEEE22summary_stats_unary_opIfEEEPS6_S6_23summary_stats_binary_opIfEEE10hipError_tPvRmT1_T2_T3_mT4_P12ihipStream_tbEUlT_E1_NS1_11comp_targetILNS1_3genE8ELNS1_11target_archE1030ELNS1_3gpuE2ELNS1_3repE0EEENS1_30default_config_static_selectorELNS0_4arch9wavefront6targetE1EEEvSR_.uses_flat_scratch, 0
	.set _ZN7rocprim17ROCPRIM_400000_NS6detail17trampoline_kernelINS0_14default_configENS1_22reduce_config_selectorI18summary_stats_dataIfEEEZNS1_11reduce_implILb1ES3_N6thrust23THRUST_200600_302600_NS11hip_rocprim26transform_input_iterator_tIS6_NSA_6detail15normal_iteratorINSA_10device_ptrIfEEEE22summary_stats_unary_opIfEEEPS6_S6_23summary_stats_binary_opIfEEE10hipError_tPvRmT1_T2_T3_mT4_P12ihipStream_tbEUlT_E1_NS1_11comp_targetILNS1_3genE8ELNS1_11target_archE1030ELNS1_3gpuE2ELNS1_3repE0EEENS1_30default_config_static_selectorELNS0_4arch9wavefront6targetE1EEEvSR_.has_dyn_sized_stack, 0
	.set _ZN7rocprim17ROCPRIM_400000_NS6detail17trampoline_kernelINS0_14default_configENS1_22reduce_config_selectorI18summary_stats_dataIfEEEZNS1_11reduce_implILb1ES3_N6thrust23THRUST_200600_302600_NS11hip_rocprim26transform_input_iterator_tIS6_NSA_6detail15normal_iteratorINSA_10device_ptrIfEEEE22summary_stats_unary_opIfEEEPS6_S6_23summary_stats_binary_opIfEEE10hipError_tPvRmT1_T2_T3_mT4_P12ihipStream_tbEUlT_E1_NS1_11comp_targetILNS1_3genE8ELNS1_11target_archE1030ELNS1_3gpuE2ELNS1_3repE0EEENS1_30default_config_static_selectorELNS0_4arch9wavefront6targetE1EEEvSR_.has_recursion, 0
	.set _ZN7rocprim17ROCPRIM_400000_NS6detail17trampoline_kernelINS0_14default_configENS1_22reduce_config_selectorI18summary_stats_dataIfEEEZNS1_11reduce_implILb1ES3_N6thrust23THRUST_200600_302600_NS11hip_rocprim26transform_input_iterator_tIS6_NSA_6detail15normal_iteratorINSA_10device_ptrIfEEEE22summary_stats_unary_opIfEEEPS6_S6_23summary_stats_binary_opIfEEE10hipError_tPvRmT1_T2_T3_mT4_P12ihipStream_tbEUlT_E1_NS1_11comp_targetILNS1_3genE8ELNS1_11target_archE1030ELNS1_3gpuE2ELNS1_3repE0EEENS1_30default_config_static_selectorELNS0_4arch9wavefront6targetE1EEEvSR_.has_indirect_call, 0
	.section	.AMDGPU.csdata,"",@progbits
; Kernel info:
; codeLenInByte = 0
; TotalNumSgprs: 4
; NumVgprs: 0
; ScratchSize: 0
; MemoryBound: 0
; FloatMode: 240
; IeeeMode: 1
; LDSByteSize: 0 bytes/workgroup (compile time only)
; SGPRBlocks: 0
; VGPRBlocks: 0
; NumSGPRsForWavesPerEU: 4
; NumVGPRsForWavesPerEU: 1
; Occupancy: 10
; WaveLimiterHint : 0
; COMPUTE_PGM_RSRC2:SCRATCH_EN: 0
; COMPUTE_PGM_RSRC2:USER_SGPR: 6
; COMPUTE_PGM_RSRC2:TRAP_HANDLER: 0
; COMPUTE_PGM_RSRC2:TGID_X_EN: 1
; COMPUTE_PGM_RSRC2:TGID_Y_EN: 0
; COMPUTE_PGM_RSRC2:TGID_Z_EN: 0
; COMPUTE_PGM_RSRC2:TIDIG_COMP_CNT: 0
	.section	.text._ZN6thrust23THRUST_200600_302600_NS11hip_rocprim14__parallel_for6kernelILj256ENS1_20__uninitialized_copy7functorINS0_6detail15normal_iteratorINS0_10device_ptrIfEEEENS0_7pointerIfNS1_3tagENS0_11use_defaultESD_EEEEmLj1EEEvT0_T1_SH_,"axG",@progbits,_ZN6thrust23THRUST_200600_302600_NS11hip_rocprim14__parallel_for6kernelILj256ENS1_20__uninitialized_copy7functorINS0_6detail15normal_iteratorINS0_10device_ptrIfEEEENS0_7pointerIfNS1_3tagENS0_11use_defaultESD_EEEEmLj1EEEvT0_T1_SH_,comdat
	.protected	_ZN6thrust23THRUST_200600_302600_NS11hip_rocprim14__parallel_for6kernelILj256ENS1_20__uninitialized_copy7functorINS0_6detail15normal_iteratorINS0_10device_ptrIfEEEENS0_7pointerIfNS1_3tagENS0_11use_defaultESD_EEEEmLj1EEEvT0_T1_SH_ ; -- Begin function _ZN6thrust23THRUST_200600_302600_NS11hip_rocprim14__parallel_for6kernelILj256ENS1_20__uninitialized_copy7functorINS0_6detail15normal_iteratorINS0_10device_ptrIfEEEENS0_7pointerIfNS1_3tagENS0_11use_defaultESD_EEEEmLj1EEEvT0_T1_SH_
	.globl	_ZN6thrust23THRUST_200600_302600_NS11hip_rocprim14__parallel_for6kernelILj256ENS1_20__uninitialized_copy7functorINS0_6detail15normal_iteratorINS0_10device_ptrIfEEEENS0_7pointerIfNS1_3tagENS0_11use_defaultESD_EEEEmLj1EEEvT0_T1_SH_
	.p2align	8
	.type	_ZN6thrust23THRUST_200600_302600_NS11hip_rocprim14__parallel_for6kernelILj256ENS1_20__uninitialized_copy7functorINS0_6detail15normal_iteratorINS0_10device_ptrIfEEEENS0_7pointerIfNS1_3tagENS0_11use_defaultESD_EEEEmLj1EEEvT0_T1_SH_,@function
_ZN6thrust23THRUST_200600_302600_NS11hip_rocprim14__parallel_for6kernelILj256ENS1_20__uninitialized_copy7functorINS0_6detail15normal_iteratorINS0_10device_ptrIfEEEENS0_7pointerIfNS1_3tagENS0_11use_defaultESD_EEEEmLj1EEEvT0_T1_SH_: ; @_ZN6thrust23THRUST_200600_302600_NS11hip_rocprim14__parallel_for6kernelILj256ENS1_20__uninitialized_copy7functorINS0_6detail15normal_iteratorINS0_10device_ptrIfEEEENS0_7pointerIfNS1_3tagENS0_11use_defaultESD_EEEEmLj1EEEvT0_T1_SH_
; %bb.0:
	s_load_dwordx8 s[8:15], s[4:5], 0x0
	s_lshl_b32 s0, s6, 8
	v_mov_b32_e32 v1, 0xff
	v_mov_b32_e32 v2, 0
	s_mov_b64 s[2:3], -1
	s_waitcnt lgkmcnt(0)
	s_add_u32 s4, s14, s0
	s_addc_u32 s5, s15, 0
	s_sub_u32 s0, s12, s4
	s_subb_u32 s1, s13, s5
	v_cmp_gt_u64_e32 vcc, s[0:1], v[1:2]
	s_cbranch_vccz .LBB36_3
; %bb.1:
	s_andn2_b64 vcc, exec, s[2:3]
	s_cbranch_vccz .LBB36_6
.LBB36_2:
	s_endpgm
.LBB36_3:
	v_cmp_gt_u32_e32 vcc, s0, v0
	s_and_saveexec_b64 s[0:1], vcc
	s_cbranch_execz .LBB36_5
; %bb.4:
	v_mov_b32_e32 v2, s5
	v_add_co_u32_e32 v1, vcc, s4, v0
	v_addc_co_u32_e32 v2, vcc, 0, v2, vcc
	v_lshlrev_b64 v[1:2], 2, v[1:2]
	v_mov_b32_e32 v4, s9
	v_add_co_u32_e32 v3, vcc, s8, v1
	v_addc_co_u32_e32 v4, vcc, v4, v2, vcc
	flat_load_dword v3, v[3:4]
	v_mov_b32_e32 v4, s11
	v_add_co_u32_e32 v1, vcc, s10, v1
	v_addc_co_u32_e32 v2, vcc, v4, v2, vcc
	s_waitcnt vmcnt(0) lgkmcnt(0)
	flat_store_dword v[1:2], v3
.LBB36_5:
	s_or_b64 exec, exec, s[0:1]
	s_cbranch_execnz .LBB36_2
.LBB36_6:
	v_mov_b32_e32 v1, s5
	v_add_co_u32_e32 v0, vcc, s4, v0
	v_addc_co_u32_e32 v1, vcc, 0, v1, vcc
	v_lshlrev_b64 v[0:1], 2, v[0:1]
	v_mov_b32_e32 v3, s9
	v_add_co_u32_e32 v2, vcc, s8, v0
	v_addc_co_u32_e32 v3, vcc, v3, v1, vcc
	flat_load_dword v2, v[2:3]
	v_mov_b32_e32 v3, s11
	v_add_co_u32_e32 v0, vcc, s10, v0
	v_addc_co_u32_e32 v1, vcc, v3, v1, vcc
	s_waitcnt vmcnt(0) lgkmcnt(0)
	flat_store_dword v[0:1], v2
	s_endpgm
	.section	.rodata,"a",@progbits
	.p2align	6, 0x0
	.amdhsa_kernel _ZN6thrust23THRUST_200600_302600_NS11hip_rocprim14__parallel_for6kernelILj256ENS1_20__uninitialized_copy7functorINS0_6detail15normal_iteratorINS0_10device_ptrIfEEEENS0_7pointerIfNS1_3tagENS0_11use_defaultESD_EEEEmLj1EEEvT0_T1_SH_
		.amdhsa_group_segment_fixed_size 0
		.amdhsa_private_segment_fixed_size 0
		.amdhsa_kernarg_size 32
		.amdhsa_user_sgpr_count 6
		.amdhsa_user_sgpr_private_segment_buffer 1
		.amdhsa_user_sgpr_dispatch_ptr 0
		.amdhsa_user_sgpr_queue_ptr 0
		.amdhsa_user_sgpr_kernarg_segment_ptr 1
		.amdhsa_user_sgpr_dispatch_id 0
		.amdhsa_user_sgpr_flat_scratch_init 0
		.amdhsa_user_sgpr_private_segment_size 0
		.amdhsa_uses_dynamic_stack 0
		.amdhsa_system_sgpr_private_segment_wavefront_offset 0
		.amdhsa_system_sgpr_workgroup_id_x 1
		.amdhsa_system_sgpr_workgroup_id_y 0
		.amdhsa_system_sgpr_workgroup_id_z 0
		.amdhsa_system_sgpr_workgroup_info 0
		.amdhsa_system_vgpr_workitem_id 0
		.amdhsa_next_free_vgpr 5
		.amdhsa_next_free_sgpr 16
		.amdhsa_reserve_vcc 1
		.amdhsa_reserve_flat_scratch 0
		.amdhsa_float_round_mode_32 0
		.amdhsa_float_round_mode_16_64 0
		.amdhsa_float_denorm_mode_32 3
		.amdhsa_float_denorm_mode_16_64 3
		.amdhsa_dx10_clamp 1
		.amdhsa_ieee_mode 1
		.amdhsa_fp16_overflow 0
		.amdhsa_exception_fp_ieee_invalid_op 0
		.amdhsa_exception_fp_denorm_src 0
		.amdhsa_exception_fp_ieee_div_zero 0
		.amdhsa_exception_fp_ieee_overflow 0
		.amdhsa_exception_fp_ieee_underflow 0
		.amdhsa_exception_fp_ieee_inexact 0
		.amdhsa_exception_int_div_zero 0
	.end_amdhsa_kernel
	.section	.text._ZN6thrust23THRUST_200600_302600_NS11hip_rocprim14__parallel_for6kernelILj256ENS1_20__uninitialized_copy7functorINS0_6detail15normal_iteratorINS0_10device_ptrIfEEEENS0_7pointerIfNS1_3tagENS0_11use_defaultESD_EEEEmLj1EEEvT0_T1_SH_,"axG",@progbits,_ZN6thrust23THRUST_200600_302600_NS11hip_rocprim14__parallel_for6kernelILj256ENS1_20__uninitialized_copy7functorINS0_6detail15normal_iteratorINS0_10device_ptrIfEEEENS0_7pointerIfNS1_3tagENS0_11use_defaultESD_EEEEmLj1EEEvT0_T1_SH_,comdat
.Lfunc_end36:
	.size	_ZN6thrust23THRUST_200600_302600_NS11hip_rocprim14__parallel_for6kernelILj256ENS1_20__uninitialized_copy7functorINS0_6detail15normal_iteratorINS0_10device_ptrIfEEEENS0_7pointerIfNS1_3tagENS0_11use_defaultESD_EEEEmLj1EEEvT0_T1_SH_, .Lfunc_end36-_ZN6thrust23THRUST_200600_302600_NS11hip_rocprim14__parallel_for6kernelILj256ENS1_20__uninitialized_copy7functorINS0_6detail15normal_iteratorINS0_10device_ptrIfEEEENS0_7pointerIfNS1_3tagENS0_11use_defaultESD_EEEEmLj1EEEvT0_T1_SH_
                                        ; -- End function
	.set _ZN6thrust23THRUST_200600_302600_NS11hip_rocprim14__parallel_for6kernelILj256ENS1_20__uninitialized_copy7functorINS0_6detail15normal_iteratorINS0_10device_ptrIfEEEENS0_7pointerIfNS1_3tagENS0_11use_defaultESD_EEEEmLj1EEEvT0_T1_SH_.num_vgpr, 5
	.set _ZN6thrust23THRUST_200600_302600_NS11hip_rocprim14__parallel_for6kernelILj256ENS1_20__uninitialized_copy7functorINS0_6detail15normal_iteratorINS0_10device_ptrIfEEEENS0_7pointerIfNS1_3tagENS0_11use_defaultESD_EEEEmLj1EEEvT0_T1_SH_.num_agpr, 0
	.set _ZN6thrust23THRUST_200600_302600_NS11hip_rocprim14__parallel_for6kernelILj256ENS1_20__uninitialized_copy7functorINS0_6detail15normal_iteratorINS0_10device_ptrIfEEEENS0_7pointerIfNS1_3tagENS0_11use_defaultESD_EEEEmLj1EEEvT0_T1_SH_.numbered_sgpr, 16
	.set _ZN6thrust23THRUST_200600_302600_NS11hip_rocprim14__parallel_for6kernelILj256ENS1_20__uninitialized_copy7functorINS0_6detail15normal_iteratorINS0_10device_ptrIfEEEENS0_7pointerIfNS1_3tagENS0_11use_defaultESD_EEEEmLj1EEEvT0_T1_SH_.num_named_barrier, 0
	.set _ZN6thrust23THRUST_200600_302600_NS11hip_rocprim14__parallel_for6kernelILj256ENS1_20__uninitialized_copy7functorINS0_6detail15normal_iteratorINS0_10device_ptrIfEEEENS0_7pointerIfNS1_3tagENS0_11use_defaultESD_EEEEmLj1EEEvT0_T1_SH_.private_seg_size, 0
	.set _ZN6thrust23THRUST_200600_302600_NS11hip_rocprim14__parallel_for6kernelILj256ENS1_20__uninitialized_copy7functorINS0_6detail15normal_iteratorINS0_10device_ptrIfEEEENS0_7pointerIfNS1_3tagENS0_11use_defaultESD_EEEEmLj1EEEvT0_T1_SH_.uses_vcc, 1
	.set _ZN6thrust23THRUST_200600_302600_NS11hip_rocprim14__parallel_for6kernelILj256ENS1_20__uninitialized_copy7functorINS0_6detail15normal_iteratorINS0_10device_ptrIfEEEENS0_7pointerIfNS1_3tagENS0_11use_defaultESD_EEEEmLj1EEEvT0_T1_SH_.uses_flat_scratch, 0
	.set _ZN6thrust23THRUST_200600_302600_NS11hip_rocprim14__parallel_for6kernelILj256ENS1_20__uninitialized_copy7functorINS0_6detail15normal_iteratorINS0_10device_ptrIfEEEENS0_7pointerIfNS1_3tagENS0_11use_defaultESD_EEEEmLj1EEEvT0_T1_SH_.has_dyn_sized_stack, 0
	.set _ZN6thrust23THRUST_200600_302600_NS11hip_rocprim14__parallel_for6kernelILj256ENS1_20__uninitialized_copy7functorINS0_6detail15normal_iteratorINS0_10device_ptrIfEEEENS0_7pointerIfNS1_3tagENS0_11use_defaultESD_EEEEmLj1EEEvT0_T1_SH_.has_recursion, 0
	.set _ZN6thrust23THRUST_200600_302600_NS11hip_rocprim14__parallel_for6kernelILj256ENS1_20__uninitialized_copy7functorINS0_6detail15normal_iteratorINS0_10device_ptrIfEEEENS0_7pointerIfNS1_3tagENS0_11use_defaultESD_EEEEmLj1EEEvT0_T1_SH_.has_indirect_call, 0
	.section	.AMDGPU.csdata,"",@progbits
; Kernel info:
; codeLenInByte = 220
; TotalNumSgprs: 20
; NumVgprs: 5
; ScratchSize: 0
; MemoryBound: 0
; FloatMode: 240
; IeeeMode: 1
; LDSByteSize: 0 bytes/workgroup (compile time only)
; SGPRBlocks: 2
; VGPRBlocks: 1
; NumSGPRsForWavesPerEU: 20
; NumVGPRsForWavesPerEU: 5
; Occupancy: 10
; WaveLimiterHint : 0
; COMPUTE_PGM_RSRC2:SCRATCH_EN: 0
; COMPUTE_PGM_RSRC2:USER_SGPR: 6
; COMPUTE_PGM_RSRC2:TRAP_HANDLER: 0
; COMPUTE_PGM_RSRC2:TGID_X_EN: 1
; COMPUTE_PGM_RSRC2:TGID_Y_EN: 0
; COMPUTE_PGM_RSRC2:TGID_Z_EN: 0
; COMPUTE_PGM_RSRC2:TIDIG_COMP_CNT: 0
	.section	.AMDGPU.gpr_maximums,"",@progbits
	.set amdgpu.max_num_vgpr, 0
	.set amdgpu.max_num_agpr, 0
	.set amdgpu.max_num_sgpr, 0
	.section	.AMDGPU.csdata,"",@progbits
	.type	__hip_cuid_4f2ba1d495987298,@object ; @__hip_cuid_4f2ba1d495987298
	.section	.bss,"aw",@nobits
	.globl	__hip_cuid_4f2ba1d495987298
__hip_cuid_4f2ba1d495987298:
	.byte	0                               ; 0x0
	.size	__hip_cuid_4f2ba1d495987298, 1

	.ident	"AMD clang version 22.0.0git (https://github.com/RadeonOpenCompute/llvm-project roc-7.2.4 26084 f58b06dce1f9c15707c5f808fd002e18c2accf7e)"
	.section	".note.GNU-stack","",@progbits
	.addrsig
	.addrsig_sym __hip_cuid_4f2ba1d495987298
	.amdgpu_metadata
---
amdhsa.kernels:
  - .args:
      - .offset:         0
        .size:           80
        .value_kind:     by_value
    .group_segment_fixed_size: 0
    .kernarg_segment_align: 8
    .kernarg_segment_size: 80
    .language:       OpenCL C
    .language_version:
      - 2
      - 0
    .max_flat_workgroup_size: 256
    .name:           _ZN7rocprim17ROCPRIM_400000_NS6detail17trampoline_kernelINS0_14default_configENS1_22reduce_config_selectorI18summary_stats_dataIfEEEZNS1_11reduce_implILb1ES3_PS6_S9_S6_23summary_stats_binary_opIfEEE10hipError_tPvRmT1_T2_T3_mT4_P12ihipStream_tbEUlT_E0_NS1_11comp_targetILNS1_3genE0ELNS1_11target_archE4294967295ELNS1_3gpuE0ELNS1_3repE0EEENS1_30default_config_static_selectorELNS0_4arch9wavefront6targetE1EEEvSF_
    .private_segment_fixed_size: 0
    .sgpr_count:     4
    .sgpr_spill_count: 0
    .symbol:         _ZN7rocprim17ROCPRIM_400000_NS6detail17trampoline_kernelINS0_14default_configENS1_22reduce_config_selectorI18summary_stats_dataIfEEEZNS1_11reduce_implILb1ES3_PS6_S9_S6_23summary_stats_binary_opIfEEE10hipError_tPvRmT1_T2_T3_mT4_P12ihipStream_tbEUlT_E0_NS1_11comp_targetILNS1_3genE0ELNS1_11target_archE4294967295ELNS1_3gpuE0ELNS1_3repE0EEENS1_30default_config_static_selectorELNS0_4arch9wavefront6targetE1EEEvSF_.kd
    .uniform_work_group_size: 1
    .uses_dynamic_stack: false
    .vgpr_count:     0
    .vgpr_spill_count: 0
    .wavefront_size: 64
  - .args:
      - .offset:         0
        .size:           80
        .value_kind:     by_value
    .group_segment_fixed_size: 0
    .kernarg_segment_align: 8
    .kernarg_segment_size: 80
    .language:       OpenCL C
    .language_version:
      - 2
      - 0
    .max_flat_workgroup_size: 256
    .name:           _ZN7rocprim17ROCPRIM_400000_NS6detail17trampoline_kernelINS0_14default_configENS1_22reduce_config_selectorI18summary_stats_dataIfEEEZNS1_11reduce_implILb1ES3_PS6_S9_S6_23summary_stats_binary_opIfEEE10hipError_tPvRmT1_T2_T3_mT4_P12ihipStream_tbEUlT_E0_NS1_11comp_targetILNS1_3genE5ELNS1_11target_archE942ELNS1_3gpuE9ELNS1_3repE0EEENS1_30default_config_static_selectorELNS0_4arch9wavefront6targetE1EEEvSF_
    .private_segment_fixed_size: 0
    .sgpr_count:     4
    .sgpr_spill_count: 0
    .symbol:         _ZN7rocprim17ROCPRIM_400000_NS6detail17trampoline_kernelINS0_14default_configENS1_22reduce_config_selectorI18summary_stats_dataIfEEEZNS1_11reduce_implILb1ES3_PS6_S9_S6_23summary_stats_binary_opIfEEE10hipError_tPvRmT1_T2_T3_mT4_P12ihipStream_tbEUlT_E0_NS1_11comp_targetILNS1_3genE5ELNS1_11target_archE942ELNS1_3gpuE9ELNS1_3repE0EEENS1_30default_config_static_selectorELNS0_4arch9wavefront6targetE1EEEvSF_.kd
    .uniform_work_group_size: 1
    .uses_dynamic_stack: false
    .vgpr_count:     0
    .vgpr_spill_count: 0
    .wavefront_size: 64
  - .args:
      - .offset:         0
        .size:           80
        .value_kind:     by_value
    .group_segment_fixed_size: 0
    .kernarg_segment_align: 8
    .kernarg_segment_size: 80
    .language:       OpenCL C
    .language_version:
      - 2
      - 0
    .max_flat_workgroup_size: 256
    .name:           _ZN7rocprim17ROCPRIM_400000_NS6detail17trampoline_kernelINS0_14default_configENS1_22reduce_config_selectorI18summary_stats_dataIfEEEZNS1_11reduce_implILb1ES3_PS6_S9_S6_23summary_stats_binary_opIfEEE10hipError_tPvRmT1_T2_T3_mT4_P12ihipStream_tbEUlT_E0_NS1_11comp_targetILNS1_3genE4ELNS1_11target_archE910ELNS1_3gpuE8ELNS1_3repE0EEENS1_30default_config_static_selectorELNS0_4arch9wavefront6targetE1EEEvSF_
    .private_segment_fixed_size: 0
    .sgpr_count:     4
    .sgpr_spill_count: 0
    .symbol:         _ZN7rocprim17ROCPRIM_400000_NS6detail17trampoline_kernelINS0_14default_configENS1_22reduce_config_selectorI18summary_stats_dataIfEEEZNS1_11reduce_implILb1ES3_PS6_S9_S6_23summary_stats_binary_opIfEEE10hipError_tPvRmT1_T2_T3_mT4_P12ihipStream_tbEUlT_E0_NS1_11comp_targetILNS1_3genE4ELNS1_11target_archE910ELNS1_3gpuE8ELNS1_3repE0EEENS1_30default_config_static_selectorELNS0_4arch9wavefront6targetE1EEEvSF_.kd
    .uniform_work_group_size: 1
    .uses_dynamic_stack: false
    .vgpr_count:     0
    .vgpr_spill_count: 0
    .wavefront_size: 64
  - .args:
      - .offset:         0
        .size:           80
        .value_kind:     by_value
    .group_segment_fixed_size: 0
    .kernarg_segment_align: 8
    .kernarg_segment_size: 80
    .language:       OpenCL C
    .language_version:
      - 2
      - 0
    .max_flat_workgroup_size: 256
    .name:           _ZN7rocprim17ROCPRIM_400000_NS6detail17trampoline_kernelINS0_14default_configENS1_22reduce_config_selectorI18summary_stats_dataIfEEEZNS1_11reduce_implILb1ES3_PS6_S9_S6_23summary_stats_binary_opIfEEE10hipError_tPvRmT1_T2_T3_mT4_P12ihipStream_tbEUlT_E0_NS1_11comp_targetILNS1_3genE3ELNS1_11target_archE908ELNS1_3gpuE7ELNS1_3repE0EEENS1_30default_config_static_selectorELNS0_4arch9wavefront6targetE1EEEvSF_
    .private_segment_fixed_size: 0
    .sgpr_count:     4
    .sgpr_spill_count: 0
    .symbol:         _ZN7rocprim17ROCPRIM_400000_NS6detail17trampoline_kernelINS0_14default_configENS1_22reduce_config_selectorI18summary_stats_dataIfEEEZNS1_11reduce_implILb1ES3_PS6_S9_S6_23summary_stats_binary_opIfEEE10hipError_tPvRmT1_T2_T3_mT4_P12ihipStream_tbEUlT_E0_NS1_11comp_targetILNS1_3genE3ELNS1_11target_archE908ELNS1_3gpuE7ELNS1_3repE0EEENS1_30default_config_static_selectorELNS0_4arch9wavefront6targetE1EEEvSF_.kd
    .uniform_work_group_size: 1
    .uses_dynamic_stack: false
    .vgpr_count:     0
    .vgpr_spill_count: 0
    .wavefront_size: 64
  - .args:
      - .offset:         0
        .size:           80
        .value_kind:     by_value
    .group_segment_fixed_size: 224
    .kernarg_segment_align: 8
    .kernarg_segment_size: 80
    .language:       OpenCL C
    .language_version:
      - 2
      - 0
    .max_flat_workgroup_size: 256
    .name:           _ZN7rocprim17ROCPRIM_400000_NS6detail17trampoline_kernelINS0_14default_configENS1_22reduce_config_selectorI18summary_stats_dataIfEEEZNS1_11reduce_implILb1ES3_PS6_S9_S6_23summary_stats_binary_opIfEEE10hipError_tPvRmT1_T2_T3_mT4_P12ihipStream_tbEUlT_E0_NS1_11comp_targetILNS1_3genE2ELNS1_11target_archE906ELNS1_3gpuE6ELNS1_3repE0EEENS1_30default_config_static_selectorELNS0_4arch9wavefront6targetE1EEEvSF_
    .private_segment_fixed_size: 0
    .sgpr_count:     36
    .sgpr_spill_count: 0
    .symbol:         _ZN7rocprim17ROCPRIM_400000_NS6detail17trampoline_kernelINS0_14default_configENS1_22reduce_config_selectorI18summary_stats_dataIfEEEZNS1_11reduce_implILb1ES3_PS6_S9_S6_23summary_stats_binary_opIfEEE10hipError_tPvRmT1_T2_T3_mT4_P12ihipStream_tbEUlT_E0_NS1_11comp_targetILNS1_3genE2ELNS1_11target_archE906ELNS1_3gpuE6ELNS1_3repE0EEENS1_30default_config_static_selectorELNS0_4arch9wavefront6targetE1EEEvSF_.kd
    .uniform_work_group_size: 1
    .uses_dynamic_stack: false
    .vgpr_count:     38
    .vgpr_spill_count: 0
    .wavefront_size: 64
  - .args:
      - .offset:         0
        .size:           80
        .value_kind:     by_value
    .group_segment_fixed_size: 0
    .kernarg_segment_align: 8
    .kernarg_segment_size: 80
    .language:       OpenCL C
    .language_version:
      - 2
      - 0
    .max_flat_workgroup_size: 256
    .name:           _ZN7rocprim17ROCPRIM_400000_NS6detail17trampoline_kernelINS0_14default_configENS1_22reduce_config_selectorI18summary_stats_dataIfEEEZNS1_11reduce_implILb1ES3_PS6_S9_S6_23summary_stats_binary_opIfEEE10hipError_tPvRmT1_T2_T3_mT4_P12ihipStream_tbEUlT_E0_NS1_11comp_targetILNS1_3genE10ELNS1_11target_archE1201ELNS1_3gpuE5ELNS1_3repE0EEENS1_30default_config_static_selectorELNS0_4arch9wavefront6targetE1EEEvSF_
    .private_segment_fixed_size: 0
    .sgpr_count:     4
    .sgpr_spill_count: 0
    .symbol:         _ZN7rocprim17ROCPRIM_400000_NS6detail17trampoline_kernelINS0_14default_configENS1_22reduce_config_selectorI18summary_stats_dataIfEEEZNS1_11reduce_implILb1ES3_PS6_S9_S6_23summary_stats_binary_opIfEEE10hipError_tPvRmT1_T2_T3_mT4_P12ihipStream_tbEUlT_E0_NS1_11comp_targetILNS1_3genE10ELNS1_11target_archE1201ELNS1_3gpuE5ELNS1_3repE0EEENS1_30default_config_static_selectorELNS0_4arch9wavefront6targetE1EEEvSF_.kd
    .uniform_work_group_size: 1
    .uses_dynamic_stack: false
    .vgpr_count:     0
    .vgpr_spill_count: 0
    .wavefront_size: 64
  - .args:
      - .offset:         0
        .size:           80
        .value_kind:     by_value
    .group_segment_fixed_size: 0
    .kernarg_segment_align: 8
    .kernarg_segment_size: 80
    .language:       OpenCL C
    .language_version:
      - 2
      - 0
    .max_flat_workgroup_size: 256
    .name:           _ZN7rocprim17ROCPRIM_400000_NS6detail17trampoline_kernelINS0_14default_configENS1_22reduce_config_selectorI18summary_stats_dataIfEEEZNS1_11reduce_implILb1ES3_PS6_S9_S6_23summary_stats_binary_opIfEEE10hipError_tPvRmT1_T2_T3_mT4_P12ihipStream_tbEUlT_E0_NS1_11comp_targetILNS1_3genE10ELNS1_11target_archE1200ELNS1_3gpuE4ELNS1_3repE0EEENS1_30default_config_static_selectorELNS0_4arch9wavefront6targetE1EEEvSF_
    .private_segment_fixed_size: 0
    .sgpr_count:     4
    .sgpr_spill_count: 0
    .symbol:         _ZN7rocprim17ROCPRIM_400000_NS6detail17trampoline_kernelINS0_14default_configENS1_22reduce_config_selectorI18summary_stats_dataIfEEEZNS1_11reduce_implILb1ES3_PS6_S9_S6_23summary_stats_binary_opIfEEE10hipError_tPvRmT1_T2_T3_mT4_P12ihipStream_tbEUlT_E0_NS1_11comp_targetILNS1_3genE10ELNS1_11target_archE1200ELNS1_3gpuE4ELNS1_3repE0EEENS1_30default_config_static_selectorELNS0_4arch9wavefront6targetE1EEEvSF_.kd
    .uniform_work_group_size: 1
    .uses_dynamic_stack: false
    .vgpr_count:     0
    .vgpr_spill_count: 0
    .wavefront_size: 64
  - .args:
      - .offset:         0
        .size:           80
        .value_kind:     by_value
    .group_segment_fixed_size: 0
    .kernarg_segment_align: 8
    .kernarg_segment_size: 80
    .language:       OpenCL C
    .language_version:
      - 2
      - 0
    .max_flat_workgroup_size: 256
    .name:           _ZN7rocprim17ROCPRIM_400000_NS6detail17trampoline_kernelINS0_14default_configENS1_22reduce_config_selectorI18summary_stats_dataIfEEEZNS1_11reduce_implILb1ES3_PS6_S9_S6_23summary_stats_binary_opIfEEE10hipError_tPvRmT1_T2_T3_mT4_P12ihipStream_tbEUlT_E0_NS1_11comp_targetILNS1_3genE9ELNS1_11target_archE1100ELNS1_3gpuE3ELNS1_3repE0EEENS1_30default_config_static_selectorELNS0_4arch9wavefront6targetE1EEEvSF_
    .private_segment_fixed_size: 0
    .sgpr_count:     4
    .sgpr_spill_count: 0
    .symbol:         _ZN7rocprim17ROCPRIM_400000_NS6detail17trampoline_kernelINS0_14default_configENS1_22reduce_config_selectorI18summary_stats_dataIfEEEZNS1_11reduce_implILb1ES3_PS6_S9_S6_23summary_stats_binary_opIfEEE10hipError_tPvRmT1_T2_T3_mT4_P12ihipStream_tbEUlT_E0_NS1_11comp_targetILNS1_3genE9ELNS1_11target_archE1100ELNS1_3gpuE3ELNS1_3repE0EEENS1_30default_config_static_selectorELNS0_4arch9wavefront6targetE1EEEvSF_.kd
    .uniform_work_group_size: 1
    .uses_dynamic_stack: false
    .vgpr_count:     0
    .vgpr_spill_count: 0
    .wavefront_size: 64
  - .args:
      - .offset:         0
        .size:           80
        .value_kind:     by_value
    .group_segment_fixed_size: 0
    .kernarg_segment_align: 8
    .kernarg_segment_size: 80
    .language:       OpenCL C
    .language_version:
      - 2
      - 0
    .max_flat_workgroup_size: 256
    .name:           _ZN7rocprim17ROCPRIM_400000_NS6detail17trampoline_kernelINS0_14default_configENS1_22reduce_config_selectorI18summary_stats_dataIfEEEZNS1_11reduce_implILb1ES3_PS6_S9_S6_23summary_stats_binary_opIfEEE10hipError_tPvRmT1_T2_T3_mT4_P12ihipStream_tbEUlT_E0_NS1_11comp_targetILNS1_3genE8ELNS1_11target_archE1030ELNS1_3gpuE2ELNS1_3repE0EEENS1_30default_config_static_selectorELNS0_4arch9wavefront6targetE1EEEvSF_
    .private_segment_fixed_size: 0
    .sgpr_count:     4
    .sgpr_spill_count: 0
    .symbol:         _ZN7rocprim17ROCPRIM_400000_NS6detail17trampoline_kernelINS0_14default_configENS1_22reduce_config_selectorI18summary_stats_dataIfEEEZNS1_11reduce_implILb1ES3_PS6_S9_S6_23summary_stats_binary_opIfEEE10hipError_tPvRmT1_T2_T3_mT4_P12ihipStream_tbEUlT_E0_NS1_11comp_targetILNS1_3genE8ELNS1_11target_archE1030ELNS1_3gpuE2ELNS1_3repE0EEENS1_30default_config_static_selectorELNS0_4arch9wavefront6targetE1EEEvSF_.kd
    .uniform_work_group_size: 1
    .uses_dynamic_stack: false
    .vgpr_count:     0
    .vgpr_spill_count: 0
    .wavefront_size: 64
  - .args:
      - .offset:         0
        .size:           64
        .value_kind:     by_value
    .group_segment_fixed_size: 0
    .kernarg_segment_align: 8
    .kernarg_segment_size: 64
    .language:       OpenCL C
    .language_version:
      - 2
      - 0
    .max_flat_workgroup_size: 256
    .name:           _ZN7rocprim17ROCPRIM_400000_NS6detail17trampoline_kernelINS0_14default_configENS1_22reduce_config_selectorI18summary_stats_dataIfEEEZNS1_11reduce_implILb1ES3_PS6_S9_S6_23summary_stats_binary_opIfEEE10hipError_tPvRmT1_T2_T3_mT4_P12ihipStream_tbEUlT_E1_NS1_11comp_targetILNS1_3genE0ELNS1_11target_archE4294967295ELNS1_3gpuE0ELNS1_3repE0EEENS1_30default_config_static_selectorELNS0_4arch9wavefront6targetE1EEEvSF_
    .private_segment_fixed_size: 0
    .sgpr_count:     4
    .sgpr_spill_count: 0
    .symbol:         _ZN7rocprim17ROCPRIM_400000_NS6detail17trampoline_kernelINS0_14default_configENS1_22reduce_config_selectorI18summary_stats_dataIfEEEZNS1_11reduce_implILb1ES3_PS6_S9_S6_23summary_stats_binary_opIfEEE10hipError_tPvRmT1_T2_T3_mT4_P12ihipStream_tbEUlT_E1_NS1_11comp_targetILNS1_3genE0ELNS1_11target_archE4294967295ELNS1_3gpuE0ELNS1_3repE0EEENS1_30default_config_static_selectorELNS0_4arch9wavefront6targetE1EEEvSF_.kd
    .uniform_work_group_size: 1
    .uses_dynamic_stack: false
    .vgpr_count:     0
    .vgpr_spill_count: 0
    .wavefront_size: 64
  - .args:
      - .offset:         0
        .size:           64
        .value_kind:     by_value
    .group_segment_fixed_size: 0
    .kernarg_segment_align: 8
    .kernarg_segment_size: 64
    .language:       OpenCL C
    .language_version:
      - 2
      - 0
    .max_flat_workgroup_size: 256
    .name:           _ZN7rocprim17ROCPRIM_400000_NS6detail17trampoline_kernelINS0_14default_configENS1_22reduce_config_selectorI18summary_stats_dataIfEEEZNS1_11reduce_implILb1ES3_PS6_S9_S6_23summary_stats_binary_opIfEEE10hipError_tPvRmT1_T2_T3_mT4_P12ihipStream_tbEUlT_E1_NS1_11comp_targetILNS1_3genE5ELNS1_11target_archE942ELNS1_3gpuE9ELNS1_3repE0EEENS1_30default_config_static_selectorELNS0_4arch9wavefront6targetE1EEEvSF_
    .private_segment_fixed_size: 0
    .sgpr_count:     4
    .sgpr_spill_count: 0
    .symbol:         _ZN7rocprim17ROCPRIM_400000_NS6detail17trampoline_kernelINS0_14default_configENS1_22reduce_config_selectorI18summary_stats_dataIfEEEZNS1_11reduce_implILb1ES3_PS6_S9_S6_23summary_stats_binary_opIfEEE10hipError_tPvRmT1_T2_T3_mT4_P12ihipStream_tbEUlT_E1_NS1_11comp_targetILNS1_3genE5ELNS1_11target_archE942ELNS1_3gpuE9ELNS1_3repE0EEENS1_30default_config_static_selectorELNS0_4arch9wavefront6targetE1EEEvSF_.kd
    .uniform_work_group_size: 1
    .uses_dynamic_stack: false
    .vgpr_count:     0
    .vgpr_spill_count: 0
    .wavefront_size: 64
  - .args:
      - .offset:         0
        .size:           64
        .value_kind:     by_value
    .group_segment_fixed_size: 0
    .kernarg_segment_align: 8
    .kernarg_segment_size: 64
    .language:       OpenCL C
    .language_version:
      - 2
      - 0
    .max_flat_workgroup_size: 256
    .name:           _ZN7rocprim17ROCPRIM_400000_NS6detail17trampoline_kernelINS0_14default_configENS1_22reduce_config_selectorI18summary_stats_dataIfEEEZNS1_11reduce_implILb1ES3_PS6_S9_S6_23summary_stats_binary_opIfEEE10hipError_tPvRmT1_T2_T3_mT4_P12ihipStream_tbEUlT_E1_NS1_11comp_targetILNS1_3genE4ELNS1_11target_archE910ELNS1_3gpuE8ELNS1_3repE0EEENS1_30default_config_static_selectorELNS0_4arch9wavefront6targetE1EEEvSF_
    .private_segment_fixed_size: 0
    .sgpr_count:     4
    .sgpr_spill_count: 0
    .symbol:         _ZN7rocprim17ROCPRIM_400000_NS6detail17trampoline_kernelINS0_14default_configENS1_22reduce_config_selectorI18summary_stats_dataIfEEEZNS1_11reduce_implILb1ES3_PS6_S9_S6_23summary_stats_binary_opIfEEE10hipError_tPvRmT1_T2_T3_mT4_P12ihipStream_tbEUlT_E1_NS1_11comp_targetILNS1_3genE4ELNS1_11target_archE910ELNS1_3gpuE8ELNS1_3repE0EEENS1_30default_config_static_selectorELNS0_4arch9wavefront6targetE1EEEvSF_.kd
    .uniform_work_group_size: 1
    .uses_dynamic_stack: false
    .vgpr_count:     0
    .vgpr_spill_count: 0
    .wavefront_size: 64
  - .args:
      - .offset:         0
        .size:           64
        .value_kind:     by_value
    .group_segment_fixed_size: 0
    .kernarg_segment_align: 8
    .kernarg_segment_size: 64
    .language:       OpenCL C
    .language_version:
      - 2
      - 0
    .max_flat_workgroup_size: 256
    .name:           _ZN7rocprim17ROCPRIM_400000_NS6detail17trampoline_kernelINS0_14default_configENS1_22reduce_config_selectorI18summary_stats_dataIfEEEZNS1_11reduce_implILb1ES3_PS6_S9_S6_23summary_stats_binary_opIfEEE10hipError_tPvRmT1_T2_T3_mT4_P12ihipStream_tbEUlT_E1_NS1_11comp_targetILNS1_3genE3ELNS1_11target_archE908ELNS1_3gpuE7ELNS1_3repE0EEENS1_30default_config_static_selectorELNS0_4arch9wavefront6targetE1EEEvSF_
    .private_segment_fixed_size: 0
    .sgpr_count:     4
    .sgpr_spill_count: 0
    .symbol:         _ZN7rocprim17ROCPRIM_400000_NS6detail17trampoline_kernelINS0_14default_configENS1_22reduce_config_selectorI18summary_stats_dataIfEEEZNS1_11reduce_implILb1ES3_PS6_S9_S6_23summary_stats_binary_opIfEEE10hipError_tPvRmT1_T2_T3_mT4_P12ihipStream_tbEUlT_E1_NS1_11comp_targetILNS1_3genE3ELNS1_11target_archE908ELNS1_3gpuE7ELNS1_3repE0EEENS1_30default_config_static_selectorELNS0_4arch9wavefront6targetE1EEEvSF_.kd
    .uniform_work_group_size: 1
    .uses_dynamic_stack: false
    .vgpr_count:     0
    .vgpr_spill_count: 0
    .wavefront_size: 64
  - .args:
      - .offset:         0
        .size:           64
        .value_kind:     by_value
    .group_segment_fixed_size: 448
    .kernarg_segment_align: 8
    .kernarg_segment_size: 64
    .language:       OpenCL C
    .language_version:
      - 2
      - 0
    .max_flat_workgroup_size: 256
    .name:           _ZN7rocprim17ROCPRIM_400000_NS6detail17trampoline_kernelINS0_14default_configENS1_22reduce_config_selectorI18summary_stats_dataIfEEEZNS1_11reduce_implILb1ES3_PS6_S9_S6_23summary_stats_binary_opIfEEE10hipError_tPvRmT1_T2_T3_mT4_P12ihipStream_tbEUlT_E1_NS1_11comp_targetILNS1_3genE2ELNS1_11target_archE906ELNS1_3gpuE6ELNS1_3repE0EEENS1_30default_config_static_selectorELNS0_4arch9wavefront6targetE1EEEvSF_
    .private_segment_fixed_size: 0
    .sgpr_count:     38
    .sgpr_spill_count: 0
    .symbol:         _ZN7rocprim17ROCPRIM_400000_NS6detail17trampoline_kernelINS0_14default_configENS1_22reduce_config_selectorI18summary_stats_dataIfEEEZNS1_11reduce_implILb1ES3_PS6_S9_S6_23summary_stats_binary_opIfEEE10hipError_tPvRmT1_T2_T3_mT4_P12ihipStream_tbEUlT_E1_NS1_11comp_targetILNS1_3genE2ELNS1_11target_archE906ELNS1_3gpuE6ELNS1_3repE0EEENS1_30default_config_static_selectorELNS0_4arch9wavefront6targetE1EEEvSF_.kd
    .uniform_work_group_size: 1
    .uses_dynamic_stack: false
    .vgpr_count:     47
    .vgpr_spill_count: 0
    .wavefront_size: 64
  - .args:
      - .offset:         0
        .size:           64
        .value_kind:     by_value
    .group_segment_fixed_size: 0
    .kernarg_segment_align: 8
    .kernarg_segment_size: 64
    .language:       OpenCL C
    .language_version:
      - 2
      - 0
    .max_flat_workgroup_size: 256
    .name:           _ZN7rocprim17ROCPRIM_400000_NS6detail17trampoline_kernelINS0_14default_configENS1_22reduce_config_selectorI18summary_stats_dataIfEEEZNS1_11reduce_implILb1ES3_PS6_S9_S6_23summary_stats_binary_opIfEEE10hipError_tPvRmT1_T2_T3_mT4_P12ihipStream_tbEUlT_E1_NS1_11comp_targetILNS1_3genE10ELNS1_11target_archE1201ELNS1_3gpuE5ELNS1_3repE0EEENS1_30default_config_static_selectorELNS0_4arch9wavefront6targetE1EEEvSF_
    .private_segment_fixed_size: 0
    .sgpr_count:     4
    .sgpr_spill_count: 0
    .symbol:         _ZN7rocprim17ROCPRIM_400000_NS6detail17trampoline_kernelINS0_14default_configENS1_22reduce_config_selectorI18summary_stats_dataIfEEEZNS1_11reduce_implILb1ES3_PS6_S9_S6_23summary_stats_binary_opIfEEE10hipError_tPvRmT1_T2_T3_mT4_P12ihipStream_tbEUlT_E1_NS1_11comp_targetILNS1_3genE10ELNS1_11target_archE1201ELNS1_3gpuE5ELNS1_3repE0EEENS1_30default_config_static_selectorELNS0_4arch9wavefront6targetE1EEEvSF_.kd
    .uniform_work_group_size: 1
    .uses_dynamic_stack: false
    .vgpr_count:     0
    .vgpr_spill_count: 0
    .wavefront_size: 64
  - .args:
      - .offset:         0
        .size:           64
        .value_kind:     by_value
    .group_segment_fixed_size: 0
    .kernarg_segment_align: 8
    .kernarg_segment_size: 64
    .language:       OpenCL C
    .language_version:
      - 2
      - 0
    .max_flat_workgroup_size: 256
    .name:           _ZN7rocprim17ROCPRIM_400000_NS6detail17trampoline_kernelINS0_14default_configENS1_22reduce_config_selectorI18summary_stats_dataIfEEEZNS1_11reduce_implILb1ES3_PS6_S9_S6_23summary_stats_binary_opIfEEE10hipError_tPvRmT1_T2_T3_mT4_P12ihipStream_tbEUlT_E1_NS1_11comp_targetILNS1_3genE10ELNS1_11target_archE1200ELNS1_3gpuE4ELNS1_3repE0EEENS1_30default_config_static_selectorELNS0_4arch9wavefront6targetE1EEEvSF_
    .private_segment_fixed_size: 0
    .sgpr_count:     4
    .sgpr_spill_count: 0
    .symbol:         _ZN7rocprim17ROCPRIM_400000_NS6detail17trampoline_kernelINS0_14default_configENS1_22reduce_config_selectorI18summary_stats_dataIfEEEZNS1_11reduce_implILb1ES3_PS6_S9_S6_23summary_stats_binary_opIfEEE10hipError_tPvRmT1_T2_T3_mT4_P12ihipStream_tbEUlT_E1_NS1_11comp_targetILNS1_3genE10ELNS1_11target_archE1200ELNS1_3gpuE4ELNS1_3repE0EEENS1_30default_config_static_selectorELNS0_4arch9wavefront6targetE1EEEvSF_.kd
    .uniform_work_group_size: 1
    .uses_dynamic_stack: false
    .vgpr_count:     0
    .vgpr_spill_count: 0
    .wavefront_size: 64
  - .args:
      - .offset:         0
        .size:           64
        .value_kind:     by_value
    .group_segment_fixed_size: 0
    .kernarg_segment_align: 8
    .kernarg_segment_size: 64
    .language:       OpenCL C
    .language_version:
      - 2
      - 0
    .max_flat_workgroup_size: 256
    .name:           _ZN7rocprim17ROCPRIM_400000_NS6detail17trampoline_kernelINS0_14default_configENS1_22reduce_config_selectorI18summary_stats_dataIfEEEZNS1_11reduce_implILb1ES3_PS6_S9_S6_23summary_stats_binary_opIfEEE10hipError_tPvRmT1_T2_T3_mT4_P12ihipStream_tbEUlT_E1_NS1_11comp_targetILNS1_3genE9ELNS1_11target_archE1100ELNS1_3gpuE3ELNS1_3repE0EEENS1_30default_config_static_selectorELNS0_4arch9wavefront6targetE1EEEvSF_
    .private_segment_fixed_size: 0
    .sgpr_count:     4
    .sgpr_spill_count: 0
    .symbol:         _ZN7rocprim17ROCPRIM_400000_NS6detail17trampoline_kernelINS0_14default_configENS1_22reduce_config_selectorI18summary_stats_dataIfEEEZNS1_11reduce_implILb1ES3_PS6_S9_S6_23summary_stats_binary_opIfEEE10hipError_tPvRmT1_T2_T3_mT4_P12ihipStream_tbEUlT_E1_NS1_11comp_targetILNS1_3genE9ELNS1_11target_archE1100ELNS1_3gpuE3ELNS1_3repE0EEENS1_30default_config_static_selectorELNS0_4arch9wavefront6targetE1EEEvSF_.kd
    .uniform_work_group_size: 1
    .uses_dynamic_stack: false
    .vgpr_count:     0
    .vgpr_spill_count: 0
    .wavefront_size: 64
  - .args:
      - .offset:         0
        .size:           64
        .value_kind:     by_value
    .group_segment_fixed_size: 0
    .kernarg_segment_align: 8
    .kernarg_segment_size: 64
    .language:       OpenCL C
    .language_version:
      - 2
      - 0
    .max_flat_workgroup_size: 256
    .name:           _ZN7rocprim17ROCPRIM_400000_NS6detail17trampoline_kernelINS0_14default_configENS1_22reduce_config_selectorI18summary_stats_dataIfEEEZNS1_11reduce_implILb1ES3_PS6_S9_S6_23summary_stats_binary_opIfEEE10hipError_tPvRmT1_T2_T3_mT4_P12ihipStream_tbEUlT_E1_NS1_11comp_targetILNS1_3genE8ELNS1_11target_archE1030ELNS1_3gpuE2ELNS1_3repE0EEENS1_30default_config_static_selectorELNS0_4arch9wavefront6targetE1EEEvSF_
    .private_segment_fixed_size: 0
    .sgpr_count:     4
    .sgpr_spill_count: 0
    .symbol:         _ZN7rocprim17ROCPRIM_400000_NS6detail17trampoline_kernelINS0_14default_configENS1_22reduce_config_selectorI18summary_stats_dataIfEEEZNS1_11reduce_implILb1ES3_PS6_S9_S6_23summary_stats_binary_opIfEEE10hipError_tPvRmT1_T2_T3_mT4_P12ihipStream_tbEUlT_E1_NS1_11comp_targetILNS1_3genE8ELNS1_11target_archE1030ELNS1_3gpuE2ELNS1_3repE0EEENS1_30default_config_static_selectorELNS0_4arch9wavefront6targetE1EEEvSF_.kd
    .uniform_work_group_size: 1
    .uses_dynamic_stack: false
    .vgpr_count:     0
    .vgpr_spill_count: 0
    .wavefront_size: 64
  - .args:
      - .offset:         0
        .size:           88
        .value_kind:     by_value
    .group_segment_fixed_size: 0
    .kernarg_segment_align: 8
    .kernarg_segment_size: 88
    .language:       OpenCL C
    .language_version:
      - 2
      - 0
    .max_flat_workgroup_size: 256
    .name:           _ZN7rocprim17ROCPRIM_400000_NS6detail17trampoline_kernelINS0_14default_configENS1_22reduce_config_selectorI18summary_stats_dataIfEEEZNS1_11reduce_implILb1ES3_N6thrust23THRUST_200600_302600_NS11hip_rocprim26transform_input_iterator_tIS6_NSA_6detail15normal_iteratorINSA_10device_ptrIfEEEE22summary_stats_unary_opIfEEEPS6_S6_23summary_stats_binary_opIfEEE10hipError_tPvRmT1_T2_T3_mT4_P12ihipStream_tbEUlT_E0_NS1_11comp_targetILNS1_3genE0ELNS1_11target_archE4294967295ELNS1_3gpuE0ELNS1_3repE0EEENS1_30default_config_static_selectorELNS0_4arch9wavefront6targetE1EEEvSR_
    .private_segment_fixed_size: 0
    .sgpr_count:     4
    .sgpr_spill_count: 0
    .symbol:         _ZN7rocprim17ROCPRIM_400000_NS6detail17trampoline_kernelINS0_14default_configENS1_22reduce_config_selectorI18summary_stats_dataIfEEEZNS1_11reduce_implILb1ES3_N6thrust23THRUST_200600_302600_NS11hip_rocprim26transform_input_iterator_tIS6_NSA_6detail15normal_iteratorINSA_10device_ptrIfEEEE22summary_stats_unary_opIfEEEPS6_S6_23summary_stats_binary_opIfEEE10hipError_tPvRmT1_T2_T3_mT4_P12ihipStream_tbEUlT_E0_NS1_11comp_targetILNS1_3genE0ELNS1_11target_archE4294967295ELNS1_3gpuE0ELNS1_3repE0EEENS1_30default_config_static_selectorELNS0_4arch9wavefront6targetE1EEEvSR_.kd
    .uniform_work_group_size: 1
    .uses_dynamic_stack: false
    .vgpr_count:     0
    .vgpr_spill_count: 0
    .wavefront_size: 64
  - .args:
      - .offset:         0
        .size:           88
        .value_kind:     by_value
    .group_segment_fixed_size: 0
    .kernarg_segment_align: 8
    .kernarg_segment_size: 88
    .language:       OpenCL C
    .language_version:
      - 2
      - 0
    .max_flat_workgroup_size: 256
    .name:           _ZN7rocprim17ROCPRIM_400000_NS6detail17trampoline_kernelINS0_14default_configENS1_22reduce_config_selectorI18summary_stats_dataIfEEEZNS1_11reduce_implILb1ES3_N6thrust23THRUST_200600_302600_NS11hip_rocprim26transform_input_iterator_tIS6_NSA_6detail15normal_iteratorINSA_10device_ptrIfEEEE22summary_stats_unary_opIfEEEPS6_S6_23summary_stats_binary_opIfEEE10hipError_tPvRmT1_T2_T3_mT4_P12ihipStream_tbEUlT_E0_NS1_11comp_targetILNS1_3genE5ELNS1_11target_archE942ELNS1_3gpuE9ELNS1_3repE0EEENS1_30default_config_static_selectorELNS0_4arch9wavefront6targetE1EEEvSR_
    .private_segment_fixed_size: 0
    .sgpr_count:     4
    .sgpr_spill_count: 0
    .symbol:         _ZN7rocprim17ROCPRIM_400000_NS6detail17trampoline_kernelINS0_14default_configENS1_22reduce_config_selectorI18summary_stats_dataIfEEEZNS1_11reduce_implILb1ES3_N6thrust23THRUST_200600_302600_NS11hip_rocprim26transform_input_iterator_tIS6_NSA_6detail15normal_iteratorINSA_10device_ptrIfEEEE22summary_stats_unary_opIfEEEPS6_S6_23summary_stats_binary_opIfEEE10hipError_tPvRmT1_T2_T3_mT4_P12ihipStream_tbEUlT_E0_NS1_11comp_targetILNS1_3genE5ELNS1_11target_archE942ELNS1_3gpuE9ELNS1_3repE0EEENS1_30default_config_static_selectorELNS0_4arch9wavefront6targetE1EEEvSR_.kd
    .uniform_work_group_size: 1
    .uses_dynamic_stack: false
    .vgpr_count:     0
    .vgpr_spill_count: 0
    .wavefront_size: 64
  - .args:
      - .offset:         0
        .size:           88
        .value_kind:     by_value
    .group_segment_fixed_size: 0
    .kernarg_segment_align: 8
    .kernarg_segment_size: 88
    .language:       OpenCL C
    .language_version:
      - 2
      - 0
    .max_flat_workgroup_size: 256
    .name:           _ZN7rocprim17ROCPRIM_400000_NS6detail17trampoline_kernelINS0_14default_configENS1_22reduce_config_selectorI18summary_stats_dataIfEEEZNS1_11reduce_implILb1ES3_N6thrust23THRUST_200600_302600_NS11hip_rocprim26transform_input_iterator_tIS6_NSA_6detail15normal_iteratorINSA_10device_ptrIfEEEE22summary_stats_unary_opIfEEEPS6_S6_23summary_stats_binary_opIfEEE10hipError_tPvRmT1_T2_T3_mT4_P12ihipStream_tbEUlT_E0_NS1_11comp_targetILNS1_3genE4ELNS1_11target_archE910ELNS1_3gpuE8ELNS1_3repE0EEENS1_30default_config_static_selectorELNS0_4arch9wavefront6targetE1EEEvSR_
    .private_segment_fixed_size: 0
    .sgpr_count:     4
    .sgpr_spill_count: 0
    .symbol:         _ZN7rocprim17ROCPRIM_400000_NS6detail17trampoline_kernelINS0_14default_configENS1_22reduce_config_selectorI18summary_stats_dataIfEEEZNS1_11reduce_implILb1ES3_N6thrust23THRUST_200600_302600_NS11hip_rocprim26transform_input_iterator_tIS6_NSA_6detail15normal_iteratorINSA_10device_ptrIfEEEE22summary_stats_unary_opIfEEEPS6_S6_23summary_stats_binary_opIfEEE10hipError_tPvRmT1_T2_T3_mT4_P12ihipStream_tbEUlT_E0_NS1_11comp_targetILNS1_3genE4ELNS1_11target_archE910ELNS1_3gpuE8ELNS1_3repE0EEENS1_30default_config_static_selectorELNS0_4arch9wavefront6targetE1EEEvSR_.kd
    .uniform_work_group_size: 1
    .uses_dynamic_stack: false
    .vgpr_count:     0
    .vgpr_spill_count: 0
    .wavefront_size: 64
  - .args:
      - .offset:         0
        .size:           88
        .value_kind:     by_value
    .group_segment_fixed_size: 0
    .kernarg_segment_align: 8
    .kernarg_segment_size: 88
    .language:       OpenCL C
    .language_version:
      - 2
      - 0
    .max_flat_workgroup_size: 256
    .name:           _ZN7rocprim17ROCPRIM_400000_NS6detail17trampoline_kernelINS0_14default_configENS1_22reduce_config_selectorI18summary_stats_dataIfEEEZNS1_11reduce_implILb1ES3_N6thrust23THRUST_200600_302600_NS11hip_rocprim26transform_input_iterator_tIS6_NSA_6detail15normal_iteratorINSA_10device_ptrIfEEEE22summary_stats_unary_opIfEEEPS6_S6_23summary_stats_binary_opIfEEE10hipError_tPvRmT1_T2_T3_mT4_P12ihipStream_tbEUlT_E0_NS1_11comp_targetILNS1_3genE3ELNS1_11target_archE908ELNS1_3gpuE7ELNS1_3repE0EEENS1_30default_config_static_selectorELNS0_4arch9wavefront6targetE1EEEvSR_
    .private_segment_fixed_size: 0
    .sgpr_count:     4
    .sgpr_spill_count: 0
    .symbol:         _ZN7rocprim17ROCPRIM_400000_NS6detail17trampoline_kernelINS0_14default_configENS1_22reduce_config_selectorI18summary_stats_dataIfEEEZNS1_11reduce_implILb1ES3_N6thrust23THRUST_200600_302600_NS11hip_rocprim26transform_input_iterator_tIS6_NSA_6detail15normal_iteratorINSA_10device_ptrIfEEEE22summary_stats_unary_opIfEEEPS6_S6_23summary_stats_binary_opIfEEE10hipError_tPvRmT1_T2_T3_mT4_P12ihipStream_tbEUlT_E0_NS1_11comp_targetILNS1_3genE3ELNS1_11target_archE908ELNS1_3gpuE7ELNS1_3repE0EEENS1_30default_config_static_selectorELNS0_4arch9wavefront6targetE1EEEvSR_.kd
    .uniform_work_group_size: 1
    .uses_dynamic_stack: false
    .vgpr_count:     0
    .vgpr_spill_count: 0
    .wavefront_size: 64
  - .args:
      - .offset:         0
        .size:           88
        .value_kind:     by_value
    .group_segment_fixed_size: 224
    .kernarg_segment_align: 8
    .kernarg_segment_size: 88
    .language:       OpenCL C
    .language_version:
      - 2
      - 0
    .max_flat_workgroup_size: 256
    .name:           _ZN7rocprim17ROCPRIM_400000_NS6detail17trampoline_kernelINS0_14default_configENS1_22reduce_config_selectorI18summary_stats_dataIfEEEZNS1_11reduce_implILb1ES3_N6thrust23THRUST_200600_302600_NS11hip_rocprim26transform_input_iterator_tIS6_NSA_6detail15normal_iteratorINSA_10device_ptrIfEEEE22summary_stats_unary_opIfEEEPS6_S6_23summary_stats_binary_opIfEEE10hipError_tPvRmT1_T2_T3_mT4_P12ihipStream_tbEUlT_E0_NS1_11comp_targetILNS1_3genE2ELNS1_11target_archE906ELNS1_3gpuE6ELNS1_3repE0EEENS1_30default_config_static_selectorELNS0_4arch9wavefront6targetE1EEEvSR_
    .private_segment_fixed_size: 0
    .sgpr_count:     32
    .sgpr_spill_count: 0
    .symbol:         _ZN7rocprim17ROCPRIM_400000_NS6detail17trampoline_kernelINS0_14default_configENS1_22reduce_config_selectorI18summary_stats_dataIfEEEZNS1_11reduce_implILb1ES3_N6thrust23THRUST_200600_302600_NS11hip_rocprim26transform_input_iterator_tIS6_NSA_6detail15normal_iteratorINSA_10device_ptrIfEEEE22summary_stats_unary_opIfEEEPS6_S6_23summary_stats_binary_opIfEEE10hipError_tPvRmT1_T2_T3_mT4_P12ihipStream_tbEUlT_E0_NS1_11comp_targetILNS1_3genE2ELNS1_11target_archE906ELNS1_3gpuE6ELNS1_3repE0EEENS1_30default_config_static_selectorELNS0_4arch9wavefront6targetE1EEEvSR_.kd
    .uniform_work_group_size: 1
    .uses_dynamic_stack: false
    .vgpr_count:     38
    .vgpr_spill_count: 0
    .wavefront_size: 64
  - .args:
      - .offset:         0
        .size:           88
        .value_kind:     by_value
    .group_segment_fixed_size: 0
    .kernarg_segment_align: 8
    .kernarg_segment_size: 88
    .language:       OpenCL C
    .language_version:
      - 2
      - 0
    .max_flat_workgroup_size: 256
    .name:           _ZN7rocprim17ROCPRIM_400000_NS6detail17trampoline_kernelINS0_14default_configENS1_22reduce_config_selectorI18summary_stats_dataIfEEEZNS1_11reduce_implILb1ES3_N6thrust23THRUST_200600_302600_NS11hip_rocprim26transform_input_iterator_tIS6_NSA_6detail15normal_iteratorINSA_10device_ptrIfEEEE22summary_stats_unary_opIfEEEPS6_S6_23summary_stats_binary_opIfEEE10hipError_tPvRmT1_T2_T3_mT4_P12ihipStream_tbEUlT_E0_NS1_11comp_targetILNS1_3genE10ELNS1_11target_archE1201ELNS1_3gpuE5ELNS1_3repE0EEENS1_30default_config_static_selectorELNS0_4arch9wavefront6targetE1EEEvSR_
    .private_segment_fixed_size: 0
    .sgpr_count:     4
    .sgpr_spill_count: 0
    .symbol:         _ZN7rocprim17ROCPRIM_400000_NS6detail17trampoline_kernelINS0_14default_configENS1_22reduce_config_selectorI18summary_stats_dataIfEEEZNS1_11reduce_implILb1ES3_N6thrust23THRUST_200600_302600_NS11hip_rocprim26transform_input_iterator_tIS6_NSA_6detail15normal_iteratorINSA_10device_ptrIfEEEE22summary_stats_unary_opIfEEEPS6_S6_23summary_stats_binary_opIfEEE10hipError_tPvRmT1_T2_T3_mT4_P12ihipStream_tbEUlT_E0_NS1_11comp_targetILNS1_3genE10ELNS1_11target_archE1201ELNS1_3gpuE5ELNS1_3repE0EEENS1_30default_config_static_selectorELNS0_4arch9wavefront6targetE1EEEvSR_.kd
    .uniform_work_group_size: 1
    .uses_dynamic_stack: false
    .vgpr_count:     0
    .vgpr_spill_count: 0
    .wavefront_size: 64
  - .args:
      - .offset:         0
        .size:           88
        .value_kind:     by_value
    .group_segment_fixed_size: 0
    .kernarg_segment_align: 8
    .kernarg_segment_size: 88
    .language:       OpenCL C
    .language_version:
      - 2
      - 0
    .max_flat_workgroup_size: 256
    .name:           _ZN7rocprim17ROCPRIM_400000_NS6detail17trampoline_kernelINS0_14default_configENS1_22reduce_config_selectorI18summary_stats_dataIfEEEZNS1_11reduce_implILb1ES3_N6thrust23THRUST_200600_302600_NS11hip_rocprim26transform_input_iterator_tIS6_NSA_6detail15normal_iteratorINSA_10device_ptrIfEEEE22summary_stats_unary_opIfEEEPS6_S6_23summary_stats_binary_opIfEEE10hipError_tPvRmT1_T2_T3_mT4_P12ihipStream_tbEUlT_E0_NS1_11comp_targetILNS1_3genE10ELNS1_11target_archE1200ELNS1_3gpuE4ELNS1_3repE0EEENS1_30default_config_static_selectorELNS0_4arch9wavefront6targetE1EEEvSR_
    .private_segment_fixed_size: 0
    .sgpr_count:     4
    .sgpr_spill_count: 0
    .symbol:         _ZN7rocprim17ROCPRIM_400000_NS6detail17trampoline_kernelINS0_14default_configENS1_22reduce_config_selectorI18summary_stats_dataIfEEEZNS1_11reduce_implILb1ES3_N6thrust23THRUST_200600_302600_NS11hip_rocprim26transform_input_iterator_tIS6_NSA_6detail15normal_iteratorINSA_10device_ptrIfEEEE22summary_stats_unary_opIfEEEPS6_S6_23summary_stats_binary_opIfEEE10hipError_tPvRmT1_T2_T3_mT4_P12ihipStream_tbEUlT_E0_NS1_11comp_targetILNS1_3genE10ELNS1_11target_archE1200ELNS1_3gpuE4ELNS1_3repE0EEENS1_30default_config_static_selectorELNS0_4arch9wavefront6targetE1EEEvSR_.kd
    .uniform_work_group_size: 1
    .uses_dynamic_stack: false
    .vgpr_count:     0
    .vgpr_spill_count: 0
    .wavefront_size: 64
  - .args:
      - .offset:         0
        .size:           88
        .value_kind:     by_value
    .group_segment_fixed_size: 0
    .kernarg_segment_align: 8
    .kernarg_segment_size: 88
    .language:       OpenCL C
    .language_version:
      - 2
      - 0
    .max_flat_workgroup_size: 256
    .name:           _ZN7rocprim17ROCPRIM_400000_NS6detail17trampoline_kernelINS0_14default_configENS1_22reduce_config_selectorI18summary_stats_dataIfEEEZNS1_11reduce_implILb1ES3_N6thrust23THRUST_200600_302600_NS11hip_rocprim26transform_input_iterator_tIS6_NSA_6detail15normal_iteratorINSA_10device_ptrIfEEEE22summary_stats_unary_opIfEEEPS6_S6_23summary_stats_binary_opIfEEE10hipError_tPvRmT1_T2_T3_mT4_P12ihipStream_tbEUlT_E0_NS1_11comp_targetILNS1_3genE9ELNS1_11target_archE1100ELNS1_3gpuE3ELNS1_3repE0EEENS1_30default_config_static_selectorELNS0_4arch9wavefront6targetE1EEEvSR_
    .private_segment_fixed_size: 0
    .sgpr_count:     4
    .sgpr_spill_count: 0
    .symbol:         _ZN7rocprim17ROCPRIM_400000_NS6detail17trampoline_kernelINS0_14default_configENS1_22reduce_config_selectorI18summary_stats_dataIfEEEZNS1_11reduce_implILb1ES3_N6thrust23THRUST_200600_302600_NS11hip_rocprim26transform_input_iterator_tIS6_NSA_6detail15normal_iteratorINSA_10device_ptrIfEEEE22summary_stats_unary_opIfEEEPS6_S6_23summary_stats_binary_opIfEEE10hipError_tPvRmT1_T2_T3_mT4_P12ihipStream_tbEUlT_E0_NS1_11comp_targetILNS1_3genE9ELNS1_11target_archE1100ELNS1_3gpuE3ELNS1_3repE0EEENS1_30default_config_static_selectorELNS0_4arch9wavefront6targetE1EEEvSR_.kd
    .uniform_work_group_size: 1
    .uses_dynamic_stack: false
    .vgpr_count:     0
    .vgpr_spill_count: 0
    .wavefront_size: 64
  - .args:
      - .offset:         0
        .size:           88
        .value_kind:     by_value
    .group_segment_fixed_size: 0
    .kernarg_segment_align: 8
    .kernarg_segment_size: 88
    .language:       OpenCL C
    .language_version:
      - 2
      - 0
    .max_flat_workgroup_size: 256
    .name:           _ZN7rocprim17ROCPRIM_400000_NS6detail17trampoline_kernelINS0_14default_configENS1_22reduce_config_selectorI18summary_stats_dataIfEEEZNS1_11reduce_implILb1ES3_N6thrust23THRUST_200600_302600_NS11hip_rocprim26transform_input_iterator_tIS6_NSA_6detail15normal_iteratorINSA_10device_ptrIfEEEE22summary_stats_unary_opIfEEEPS6_S6_23summary_stats_binary_opIfEEE10hipError_tPvRmT1_T2_T3_mT4_P12ihipStream_tbEUlT_E0_NS1_11comp_targetILNS1_3genE8ELNS1_11target_archE1030ELNS1_3gpuE2ELNS1_3repE0EEENS1_30default_config_static_selectorELNS0_4arch9wavefront6targetE1EEEvSR_
    .private_segment_fixed_size: 0
    .sgpr_count:     4
    .sgpr_spill_count: 0
    .symbol:         _ZN7rocprim17ROCPRIM_400000_NS6detail17trampoline_kernelINS0_14default_configENS1_22reduce_config_selectorI18summary_stats_dataIfEEEZNS1_11reduce_implILb1ES3_N6thrust23THRUST_200600_302600_NS11hip_rocprim26transform_input_iterator_tIS6_NSA_6detail15normal_iteratorINSA_10device_ptrIfEEEE22summary_stats_unary_opIfEEEPS6_S6_23summary_stats_binary_opIfEEE10hipError_tPvRmT1_T2_T3_mT4_P12ihipStream_tbEUlT_E0_NS1_11comp_targetILNS1_3genE8ELNS1_11target_archE1030ELNS1_3gpuE2ELNS1_3repE0EEENS1_30default_config_static_selectorELNS0_4arch9wavefront6targetE1EEEvSR_.kd
    .uniform_work_group_size: 1
    .uses_dynamic_stack: false
    .vgpr_count:     0
    .vgpr_spill_count: 0
    .wavefront_size: 64
  - .args:
      - .offset:         0
        .size:           72
        .value_kind:     by_value
    .group_segment_fixed_size: 0
    .kernarg_segment_align: 8
    .kernarg_segment_size: 72
    .language:       OpenCL C
    .language_version:
      - 2
      - 0
    .max_flat_workgroup_size: 256
    .name:           _ZN7rocprim17ROCPRIM_400000_NS6detail17trampoline_kernelINS0_14default_configENS1_22reduce_config_selectorI18summary_stats_dataIfEEEZNS1_11reduce_implILb1ES3_N6thrust23THRUST_200600_302600_NS11hip_rocprim26transform_input_iterator_tIS6_NSA_6detail15normal_iteratorINSA_10device_ptrIfEEEE22summary_stats_unary_opIfEEEPS6_S6_23summary_stats_binary_opIfEEE10hipError_tPvRmT1_T2_T3_mT4_P12ihipStream_tbEUlT_E1_NS1_11comp_targetILNS1_3genE0ELNS1_11target_archE4294967295ELNS1_3gpuE0ELNS1_3repE0EEENS1_30default_config_static_selectorELNS0_4arch9wavefront6targetE1EEEvSR_
    .private_segment_fixed_size: 0
    .sgpr_count:     4
    .sgpr_spill_count: 0
    .symbol:         _ZN7rocprim17ROCPRIM_400000_NS6detail17trampoline_kernelINS0_14default_configENS1_22reduce_config_selectorI18summary_stats_dataIfEEEZNS1_11reduce_implILb1ES3_N6thrust23THRUST_200600_302600_NS11hip_rocprim26transform_input_iterator_tIS6_NSA_6detail15normal_iteratorINSA_10device_ptrIfEEEE22summary_stats_unary_opIfEEEPS6_S6_23summary_stats_binary_opIfEEE10hipError_tPvRmT1_T2_T3_mT4_P12ihipStream_tbEUlT_E1_NS1_11comp_targetILNS1_3genE0ELNS1_11target_archE4294967295ELNS1_3gpuE0ELNS1_3repE0EEENS1_30default_config_static_selectorELNS0_4arch9wavefront6targetE1EEEvSR_.kd
    .uniform_work_group_size: 1
    .uses_dynamic_stack: false
    .vgpr_count:     0
    .vgpr_spill_count: 0
    .wavefront_size: 64
  - .args:
      - .offset:         0
        .size:           72
        .value_kind:     by_value
    .group_segment_fixed_size: 0
    .kernarg_segment_align: 8
    .kernarg_segment_size: 72
    .language:       OpenCL C
    .language_version:
      - 2
      - 0
    .max_flat_workgroup_size: 256
    .name:           _ZN7rocprim17ROCPRIM_400000_NS6detail17trampoline_kernelINS0_14default_configENS1_22reduce_config_selectorI18summary_stats_dataIfEEEZNS1_11reduce_implILb1ES3_N6thrust23THRUST_200600_302600_NS11hip_rocprim26transform_input_iterator_tIS6_NSA_6detail15normal_iteratorINSA_10device_ptrIfEEEE22summary_stats_unary_opIfEEEPS6_S6_23summary_stats_binary_opIfEEE10hipError_tPvRmT1_T2_T3_mT4_P12ihipStream_tbEUlT_E1_NS1_11comp_targetILNS1_3genE5ELNS1_11target_archE942ELNS1_3gpuE9ELNS1_3repE0EEENS1_30default_config_static_selectorELNS0_4arch9wavefront6targetE1EEEvSR_
    .private_segment_fixed_size: 0
    .sgpr_count:     4
    .sgpr_spill_count: 0
    .symbol:         _ZN7rocprim17ROCPRIM_400000_NS6detail17trampoline_kernelINS0_14default_configENS1_22reduce_config_selectorI18summary_stats_dataIfEEEZNS1_11reduce_implILb1ES3_N6thrust23THRUST_200600_302600_NS11hip_rocprim26transform_input_iterator_tIS6_NSA_6detail15normal_iteratorINSA_10device_ptrIfEEEE22summary_stats_unary_opIfEEEPS6_S6_23summary_stats_binary_opIfEEE10hipError_tPvRmT1_T2_T3_mT4_P12ihipStream_tbEUlT_E1_NS1_11comp_targetILNS1_3genE5ELNS1_11target_archE942ELNS1_3gpuE9ELNS1_3repE0EEENS1_30default_config_static_selectorELNS0_4arch9wavefront6targetE1EEEvSR_.kd
    .uniform_work_group_size: 1
    .uses_dynamic_stack: false
    .vgpr_count:     0
    .vgpr_spill_count: 0
    .wavefront_size: 64
  - .args:
      - .offset:         0
        .size:           72
        .value_kind:     by_value
    .group_segment_fixed_size: 0
    .kernarg_segment_align: 8
    .kernarg_segment_size: 72
    .language:       OpenCL C
    .language_version:
      - 2
      - 0
    .max_flat_workgroup_size: 256
    .name:           _ZN7rocprim17ROCPRIM_400000_NS6detail17trampoline_kernelINS0_14default_configENS1_22reduce_config_selectorI18summary_stats_dataIfEEEZNS1_11reduce_implILb1ES3_N6thrust23THRUST_200600_302600_NS11hip_rocprim26transform_input_iterator_tIS6_NSA_6detail15normal_iteratorINSA_10device_ptrIfEEEE22summary_stats_unary_opIfEEEPS6_S6_23summary_stats_binary_opIfEEE10hipError_tPvRmT1_T2_T3_mT4_P12ihipStream_tbEUlT_E1_NS1_11comp_targetILNS1_3genE4ELNS1_11target_archE910ELNS1_3gpuE8ELNS1_3repE0EEENS1_30default_config_static_selectorELNS0_4arch9wavefront6targetE1EEEvSR_
    .private_segment_fixed_size: 0
    .sgpr_count:     4
    .sgpr_spill_count: 0
    .symbol:         _ZN7rocprim17ROCPRIM_400000_NS6detail17trampoline_kernelINS0_14default_configENS1_22reduce_config_selectorI18summary_stats_dataIfEEEZNS1_11reduce_implILb1ES3_N6thrust23THRUST_200600_302600_NS11hip_rocprim26transform_input_iterator_tIS6_NSA_6detail15normal_iteratorINSA_10device_ptrIfEEEE22summary_stats_unary_opIfEEEPS6_S6_23summary_stats_binary_opIfEEE10hipError_tPvRmT1_T2_T3_mT4_P12ihipStream_tbEUlT_E1_NS1_11comp_targetILNS1_3genE4ELNS1_11target_archE910ELNS1_3gpuE8ELNS1_3repE0EEENS1_30default_config_static_selectorELNS0_4arch9wavefront6targetE1EEEvSR_.kd
    .uniform_work_group_size: 1
    .uses_dynamic_stack: false
    .vgpr_count:     0
    .vgpr_spill_count: 0
    .wavefront_size: 64
  - .args:
      - .offset:         0
        .size:           72
        .value_kind:     by_value
    .group_segment_fixed_size: 0
    .kernarg_segment_align: 8
    .kernarg_segment_size: 72
    .language:       OpenCL C
    .language_version:
      - 2
      - 0
    .max_flat_workgroup_size: 256
    .name:           _ZN7rocprim17ROCPRIM_400000_NS6detail17trampoline_kernelINS0_14default_configENS1_22reduce_config_selectorI18summary_stats_dataIfEEEZNS1_11reduce_implILb1ES3_N6thrust23THRUST_200600_302600_NS11hip_rocprim26transform_input_iterator_tIS6_NSA_6detail15normal_iteratorINSA_10device_ptrIfEEEE22summary_stats_unary_opIfEEEPS6_S6_23summary_stats_binary_opIfEEE10hipError_tPvRmT1_T2_T3_mT4_P12ihipStream_tbEUlT_E1_NS1_11comp_targetILNS1_3genE3ELNS1_11target_archE908ELNS1_3gpuE7ELNS1_3repE0EEENS1_30default_config_static_selectorELNS0_4arch9wavefront6targetE1EEEvSR_
    .private_segment_fixed_size: 0
    .sgpr_count:     4
    .sgpr_spill_count: 0
    .symbol:         _ZN7rocprim17ROCPRIM_400000_NS6detail17trampoline_kernelINS0_14default_configENS1_22reduce_config_selectorI18summary_stats_dataIfEEEZNS1_11reduce_implILb1ES3_N6thrust23THRUST_200600_302600_NS11hip_rocprim26transform_input_iterator_tIS6_NSA_6detail15normal_iteratorINSA_10device_ptrIfEEEE22summary_stats_unary_opIfEEEPS6_S6_23summary_stats_binary_opIfEEE10hipError_tPvRmT1_T2_T3_mT4_P12ihipStream_tbEUlT_E1_NS1_11comp_targetILNS1_3genE3ELNS1_11target_archE908ELNS1_3gpuE7ELNS1_3repE0EEENS1_30default_config_static_selectorELNS0_4arch9wavefront6targetE1EEEvSR_.kd
    .uniform_work_group_size: 1
    .uses_dynamic_stack: false
    .vgpr_count:     0
    .vgpr_spill_count: 0
    .wavefront_size: 64
  - .args:
      - .offset:         0
        .size:           72
        .value_kind:     by_value
    .group_segment_fixed_size: 448
    .kernarg_segment_align: 8
    .kernarg_segment_size: 72
    .language:       OpenCL C
    .language_version:
      - 2
      - 0
    .max_flat_workgroup_size: 256
    .name:           _ZN7rocprim17ROCPRIM_400000_NS6detail17trampoline_kernelINS0_14default_configENS1_22reduce_config_selectorI18summary_stats_dataIfEEEZNS1_11reduce_implILb1ES3_N6thrust23THRUST_200600_302600_NS11hip_rocprim26transform_input_iterator_tIS6_NSA_6detail15normal_iteratorINSA_10device_ptrIfEEEE22summary_stats_unary_opIfEEEPS6_S6_23summary_stats_binary_opIfEEE10hipError_tPvRmT1_T2_T3_mT4_P12ihipStream_tbEUlT_E1_NS1_11comp_targetILNS1_3genE2ELNS1_11target_archE906ELNS1_3gpuE6ELNS1_3repE0EEENS1_30default_config_static_selectorELNS0_4arch9wavefront6targetE1EEEvSR_
    .private_segment_fixed_size: 0
    .sgpr_count:     39
    .sgpr_spill_count: 0
    .symbol:         _ZN7rocprim17ROCPRIM_400000_NS6detail17trampoline_kernelINS0_14default_configENS1_22reduce_config_selectorI18summary_stats_dataIfEEEZNS1_11reduce_implILb1ES3_N6thrust23THRUST_200600_302600_NS11hip_rocprim26transform_input_iterator_tIS6_NSA_6detail15normal_iteratorINSA_10device_ptrIfEEEE22summary_stats_unary_opIfEEEPS6_S6_23summary_stats_binary_opIfEEE10hipError_tPvRmT1_T2_T3_mT4_P12ihipStream_tbEUlT_E1_NS1_11comp_targetILNS1_3genE2ELNS1_11target_archE906ELNS1_3gpuE6ELNS1_3repE0EEENS1_30default_config_static_selectorELNS0_4arch9wavefront6targetE1EEEvSR_.kd
    .uniform_work_group_size: 1
    .uses_dynamic_stack: false
    .vgpr_count:     38
    .vgpr_spill_count: 0
    .wavefront_size: 64
  - .args:
      - .offset:         0
        .size:           72
        .value_kind:     by_value
    .group_segment_fixed_size: 0
    .kernarg_segment_align: 8
    .kernarg_segment_size: 72
    .language:       OpenCL C
    .language_version:
      - 2
      - 0
    .max_flat_workgroup_size: 256
    .name:           _ZN7rocprim17ROCPRIM_400000_NS6detail17trampoline_kernelINS0_14default_configENS1_22reduce_config_selectorI18summary_stats_dataIfEEEZNS1_11reduce_implILb1ES3_N6thrust23THRUST_200600_302600_NS11hip_rocprim26transform_input_iterator_tIS6_NSA_6detail15normal_iteratorINSA_10device_ptrIfEEEE22summary_stats_unary_opIfEEEPS6_S6_23summary_stats_binary_opIfEEE10hipError_tPvRmT1_T2_T3_mT4_P12ihipStream_tbEUlT_E1_NS1_11comp_targetILNS1_3genE10ELNS1_11target_archE1201ELNS1_3gpuE5ELNS1_3repE0EEENS1_30default_config_static_selectorELNS0_4arch9wavefront6targetE1EEEvSR_
    .private_segment_fixed_size: 0
    .sgpr_count:     4
    .sgpr_spill_count: 0
    .symbol:         _ZN7rocprim17ROCPRIM_400000_NS6detail17trampoline_kernelINS0_14default_configENS1_22reduce_config_selectorI18summary_stats_dataIfEEEZNS1_11reduce_implILb1ES3_N6thrust23THRUST_200600_302600_NS11hip_rocprim26transform_input_iterator_tIS6_NSA_6detail15normal_iteratorINSA_10device_ptrIfEEEE22summary_stats_unary_opIfEEEPS6_S6_23summary_stats_binary_opIfEEE10hipError_tPvRmT1_T2_T3_mT4_P12ihipStream_tbEUlT_E1_NS1_11comp_targetILNS1_3genE10ELNS1_11target_archE1201ELNS1_3gpuE5ELNS1_3repE0EEENS1_30default_config_static_selectorELNS0_4arch9wavefront6targetE1EEEvSR_.kd
    .uniform_work_group_size: 1
    .uses_dynamic_stack: false
    .vgpr_count:     0
    .vgpr_spill_count: 0
    .wavefront_size: 64
  - .args:
      - .offset:         0
        .size:           72
        .value_kind:     by_value
    .group_segment_fixed_size: 0
    .kernarg_segment_align: 8
    .kernarg_segment_size: 72
    .language:       OpenCL C
    .language_version:
      - 2
      - 0
    .max_flat_workgroup_size: 256
    .name:           _ZN7rocprim17ROCPRIM_400000_NS6detail17trampoline_kernelINS0_14default_configENS1_22reduce_config_selectorI18summary_stats_dataIfEEEZNS1_11reduce_implILb1ES3_N6thrust23THRUST_200600_302600_NS11hip_rocprim26transform_input_iterator_tIS6_NSA_6detail15normal_iteratorINSA_10device_ptrIfEEEE22summary_stats_unary_opIfEEEPS6_S6_23summary_stats_binary_opIfEEE10hipError_tPvRmT1_T2_T3_mT4_P12ihipStream_tbEUlT_E1_NS1_11comp_targetILNS1_3genE10ELNS1_11target_archE1200ELNS1_3gpuE4ELNS1_3repE0EEENS1_30default_config_static_selectorELNS0_4arch9wavefront6targetE1EEEvSR_
    .private_segment_fixed_size: 0
    .sgpr_count:     4
    .sgpr_spill_count: 0
    .symbol:         _ZN7rocprim17ROCPRIM_400000_NS6detail17trampoline_kernelINS0_14default_configENS1_22reduce_config_selectorI18summary_stats_dataIfEEEZNS1_11reduce_implILb1ES3_N6thrust23THRUST_200600_302600_NS11hip_rocprim26transform_input_iterator_tIS6_NSA_6detail15normal_iteratorINSA_10device_ptrIfEEEE22summary_stats_unary_opIfEEEPS6_S6_23summary_stats_binary_opIfEEE10hipError_tPvRmT1_T2_T3_mT4_P12ihipStream_tbEUlT_E1_NS1_11comp_targetILNS1_3genE10ELNS1_11target_archE1200ELNS1_3gpuE4ELNS1_3repE0EEENS1_30default_config_static_selectorELNS0_4arch9wavefront6targetE1EEEvSR_.kd
    .uniform_work_group_size: 1
    .uses_dynamic_stack: false
    .vgpr_count:     0
    .vgpr_spill_count: 0
    .wavefront_size: 64
  - .args:
      - .offset:         0
        .size:           72
        .value_kind:     by_value
    .group_segment_fixed_size: 0
    .kernarg_segment_align: 8
    .kernarg_segment_size: 72
    .language:       OpenCL C
    .language_version:
      - 2
      - 0
    .max_flat_workgroup_size: 256
    .name:           _ZN7rocprim17ROCPRIM_400000_NS6detail17trampoline_kernelINS0_14default_configENS1_22reduce_config_selectorI18summary_stats_dataIfEEEZNS1_11reduce_implILb1ES3_N6thrust23THRUST_200600_302600_NS11hip_rocprim26transform_input_iterator_tIS6_NSA_6detail15normal_iteratorINSA_10device_ptrIfEEEE22summary_stats_unary_opIfEEEPS6_S6_23summary_stats_binary_opIfEEE10hipError_tPvRmT1_T2_T3_mT4_P12ihipStream_tbEUlT_E1_NS1_11comp_targetILNS1_3genE9ELNS1_11target_archE1100ELNS1_3gpuE3ELNS1_3repE0EEENS1_30default_config_static_selectorELNS0_4arch9wavefront6targetE1EEEvSR_
    .private_segment_fixed_size: 0
    .sgpr_count:     4
    .sgpr_spill_count: 0
    .symbol:         _ZN7rocprim17ROCPRIM_400000_NS6detail17trampoline_kernelINS0_14default_configENS1_22reduce_config_selectorI18summary_stats_dataIfEEEZNS1_11reduce_implILb1ES3_N6thrust23THRUST_200600_302600_NS11hip_rocprim26transform_input_iterator_tIS6_NSA_6detail15normal_iteratorINSA_10device_ptrIfEEEE22summary_stats_unary_opIfEEEPS6_S6_23summary_stats_binary_opIfEEE10hipError_tPvRmT1_T2_T3_mT4_P12ihipStream_tbEUlT_E1_NS1_11comp_targetILNS1_3genE9ELNS1_11target_archE1100ELNS1_3gpuE3ELNS1_3repE0EEENS1_30default_config_static_selectorELNS0_4arch9wavefront6targetE1EEEvSR_.kd
    .uniform_work_group_size: 1
    .uses_dynamic_stack: false
    .vgpr_count:     0
    .vgpr_spill_count: 0
    .wavefront_size: 64
  - .args:
      - .offset:         0
        .size:           72
        .value_kind:     by_value
    .group_segment_fixed_size: 0
    .kernarg_segment_align: 8
    .kernarg_segment_size: 72
    .language:       OpenCL C
    .language_version:
      - 2
      - 0
    .max_flat_workgroup_size: 256
    .name:           _ZN7rocprim17ROCPRIM_400000_NS6detail17trampoline_kernelINS0_14default_configENS1_22reduce_config_selectorI18summary_stats_dataIfEEEZNS1_11reduce_implILb1ES3_N6thrust23THRUST_200600_302600_NS11hip_rocprim26transform_input_iterator_tIS6_NSA_6detail15normal_iteratorINSA_10device_ptrIfEEEE22summary_stats_unary_opIfEEEPS6_S6_23summary_stats_binary_opIfEEE10hipError_tPvRmT1_T2_T3_mT4_P12ihipStream_tbEUlT_E1_NS1_11comp_targetILNS1_3genE8ELNS1_11target_archE1030ELNS1_3gpuE2ELNS1_3repE0EEENS1_30default_config_static_selectorELNS0_4arch9wavefront6targetE1EEEvSR_
    .private_segment_fixed_size: 0
    .sgpr_count:     4
    .sgpr_spill_count: 0
    .symbol:         _ZN7rocprim17ROCPRIM_400000_NS6detail17trampoline_kernelINS0_14default_configENS1_22reduce_config_selectorI18summary_stats_dataIfEEEZNS1_11reduce_implILb1ES3_N6thrust23THRUST_200600_302600_NS11hip_rocprim26transform_input_iterator_tIS6_NSA_6detail15normal_iteratorINSA_10device_ptrIfEEEE22summary_stats_unary_opIfEEEPS6_S6_23summary_stats_binary_opIfEEE10hipError_tPvRmT1_T2_T3_mT4_P12ihipStream_tbEUlT_E1_NS1_11comp_targetILNS1_3genE8ELNS1_11target_archE1030ELNS1_3gpuE2ELNS1_3repE0EEENS1_30default_config_static_selectorELNS0_4arch9wavefront6targetE1EEEvSR_.kd
    .uniform_work_group_size: 1
    .uses_dynamic_stack: false
    .vgpr_count:     0
    .vgpr_spill_count: 0
    .wavefront_size: 64
  - .args:
      - .offset:         0
        .size:           16
        .value_kind:     by_value
      - .offset:         16
        .size:           8
        .value_kind:     by_value
      - .offset:         24
        .size:           8
        .value_kind:     by_value
    .group_segment_fixed_size: 0
    .kernarg_segment_align: 8
    .kernarg_segment_size: 32
    .language:       OpenCL C
    .language_version:
      - 2
      - 0
    .max_flat_workgroup_size: 256
    .name:           _ZN6thrust23THRUST_200600_302600_NS11hip_rocprim14__parallel_for6kernelILj256ENS1_20__uninitialized_copy7functorINS0_6detail15normal_iteratorINS0_10device_ptrIfEEEENS0_7pointerIfNS1_3tagENS0_11use_defaultESD_EEEEmLj1EEEvT0_T1_SH_
    .private_segment_fixed_size: 0
    .sgpr_count:     20
    .sgpr_spill_count: 0
    .symbol:         _ZN6thrust23THRUST_200600_302600_NS11hip_rocprim14__parallel_for6kernelILj256ENS1_20__uninitialized_copy7functorINS0_6detail15normal_iteratorINS0_10device_ptrIfEEEENS0_7pointerIfNS1_3tagENS0_11use_defaultESD_EEEEmLj1EEEvT0_T1_SH_.kd
    .uniform_work_group_size: 1
    .uses_dynamic_stack: false
    .vgpr_count:     5
    .vgpr_spill_count: 0
    .wavefront_size: 64
amdhsa.target:   amdgcn-amd-amdhsa--gfx906
amdhsa.version:
  - 1
  - 2
...

	.end_amdgpu_metadata
